;; amdgpu-corpus repo=ROCm/rocFFT kind=compiled arch=gfx1201 opt=O3
	.text
	.amdgcn_target "amdgcn-amd-amdhsa--gfx1201"
	.amdhsa_code_object_version 6
	.protected	bluestein_single_fwd_len1089_dim1_dp_op_CI_CI ; -- Begin function bluestein_single_fwd_len1089_dim1_dp_op_CI_CI
	.globl	bluestein_single_fwd_len1089_dim1_dp_op_CI_CI
	.p2align	8
	.type	bluestein_single_fwd_len1089_dim1_dp_op_CI_CI,@function
bluestein_single_fwd_len1089_dim1_dp_op_CI_CI: ; @bluestein_single_fwd_len1089_dim1_dp_op_CI_CI
; %bb.0:
	s_load_b128 s[8:11], s[0:1], 0x28
	v_mul_u32_u24_e32 v1, 0x21e, v0
	s_mov_b32 s2, exec_lo
	v_mov_b32_e32 v6, 0
	s_delay_alu instid0(VALU_DEP_2) | instskip(NEXT) | instid1(VALU_DEP_1)
	v_lshrrev_b32_e32 v1, 16, v1
	v_add_nc_u32_e32 v5, ttmp9, v1
	s_wait_kmcnt 0x0
	s_delay_alu instid0(VALU_DEP_1)
	v_cmpx_gt_u64_e64 s[8:9], v[5:6]
	s_cbranch_execz .LBB0_18
; %bb.1:
	s_load_b128 s[4:7], s[0:1], 0x18
	v_mul_lo_u16 v1, 0x79, v1
                                        ; implicit-def: $vgpr112_vgpr113
                                        ; implicit-def: $vgpr116_vgpr117
	v_mov_b32_e32 v6, v5
	s_delay_alu instid0(VALU_DEP_2) | instskip(SKIP_2) | instid1(VALU_DEP_1)
	v_sub_nc_u16 v0, v0, v1
	scratch_store_b64 off, v[6:7], off      ; 8-byte Folded Spill
	v_and_b32_e32 v255, 0xffff, v0
	v_lshlrev_b32_e32 v184, 4, v255
	s_wait_kmcnt 0x0
	s_load_b128 s[12:15], s[4:5], 0x0
	s_wait_kmcnt 0x0
	v_mad_co_u64_u32 v[1:2], null, s14, v5, 0
	v_mad_co_u64_u32 v[3:4], null, s12, v255, 0
	s_mul_i32 s4, s13, 0xffffda30
	s_mul_u64 s[2:3], s[12:13], 0x16b0
	s_sub_co_i32 s4, s4, s12
	s_delay_alu instid0(VALU_DEP_1) | instskip(NEXT) | instid1(VALU_DEP_1)
	v_mad_co_u64_u32 v[5:6], null, s15, v5, v[2:3]
	v_mad_co_u64_u32 v[6:7], null, s13, v255, v[4:5]
	v_mov_b32_e32 v2, v5
	s_mov_b32 s13, 0xbfebb67a
	s_delay_alu instid0(VALU_DEP_1) | instskip(NEXT) | instid1(VALU_DEP_3)
	v_lshlrev_b64_e32 v[1:2], 4, v[1:2]
	v_mov_b32_e32 v4, v6
	s_delay_alu instid0(VALU_DEP_2) | instskip(NEXT) | instid1(VALU_DEP_2)
	v_add_co_u32 v1, vcc_lo, s10, v1
	v_lshlrev_b64_e32 v[3:4], 4, v[3:4]
	s_delay_alu instid0(VALU_DEP_4)
	v_add_co_ci_u32_e32 v2, vcc_lo, s11, v2, vcc_lo
	s_load_b128 s[8:11], s[0:1], 0x0
	s_wait_kmcnt 0x0
	s_clause 0x2
	global_load_b128 v[32:35], v184, s[8:9]
	global_load_b128 v[23:26], v184, s[8:9] offset:1936
	global_load_b128 v[19:22], v184, s[8:9] offset:7744
	v_add_co_u32 v1, vcc_lo, v1, v3
	s_wait_alu 0xfffd
	v_add_co_ci_u32_e32 v2, vcc_lo, v2, v4, vcc_lo
	s_delay_alu instid0(VALU_DEP_2) | instskip(SKIP_1) | instid1(VALU_DEP_2)
	v_add_co_u32 v5, vcc_lo, v1, s2
	s_wait_alu 0xfffd
	v_add_co_ci_u32_e32 v6, vcc_lo, s3, v2, vcc_lo
	s_delay_alu instid0(VALU_DEP_2) | instskip(SKIP_1) | instid1(VALU_DEP_2)
	v_add_co_u32 v13, vcc_lo, v5, s2
	s_wait_alu 0xfffd
	v_add_co_ci_u32_e32 v14, vcc_lo, s3, v6, vcc_lo
	s_delay_alu instid0(VALU_DEP_1) | instskip(NEXT) | instid1(VALU_DEP_1)
	v_mad_co_u64_u32 v[9:10], null, 0xffffda30, s12, v[13:14]
	v_add_nc_u32_e32 v10, s4, v10
	s_delay_alu instid0(VALU_DEP_2) | instskip(SKIP_1) | instid1(VALU_DEP_2)
	v_add_co_u32 v17, vcc_lo, v9, s2
	s_wait_alu 0xfffd
	v_add_co_ci_u32_e32 v18, vcc_lo, s3, v10, vcc_lo
	s_delay_alu instid0(VALU_DEP_2)
	v_add_co_u32 v28, vcc_lo, v17, s2
	s_clause 0x3
	global_load_b128 v[98:101], v184, s[8:9] offset:11616
	global_load_b128 v[90:93], v184, s[8:9] offset:13552
	;; [unrolled: 1-line block ×4, first 2 shown]
	s_clause 0x2
	global_load_b128 v[1:4], v[1:2], off
	global_load_b128 v[5:8], v[5:6], off
	;; [unrolled: 1-line block ×3, first 2 shown]
	s_wait_alu 0xfffd
	v_add_co_ci_u32_e32 v29, vcc_lo, s3, v18, vcc_lo
	s_clause 0x1
	global_load_b128 v[13:16], v[13:14], off
	global_load_b128 v[36:39], v[17:18], off
	v_mad_co_u64_u32 v[30:31], null, 0xffffda30, s12, v[28:29]
	global_load_b128 v[40:43], v[28:29], off
	v_add_nc_u32_e32 v31, s4, v31
	v_add_co_u32 v17, vcc_lo, v30, s2
	s_wait_alu 0xfffd
	s_delay_alu instid0(VALU_DEP_2) | instskip(NEXT) | instid1(VALU_DEP_2)
	v_add_co_ci_u32_e32 v18, vcc_lo, s3, v31, vcc_lo
	v_add_co_u32 v52, vcc_lo, v17, s2
	s_wait_alu 0xfffd
	s_delay_alu instid0(VALU_DEP_2)
	v_add_co_ci_u32_e32 v53, vcc_lo, s3, v18, vcc_lo
	global_load_b128 v[44:47], v[30:31], off
	global_load_b128 v[27:30], v184, s[8:9] offset:9680
	global_load_b128 v[48:51], v[17:18], off
	global_load_b128 v[106:109], v184, s[8:9] offset:15488
	global_load_b128 v[52:55], v[52:53], off
	s_load_b128 s[4:7], s[6:7], 0x0
	s_mov_b32 s2, 0xe8584caa
	s_mov_b32 s3, 0x3febb67a
	s_wait_alu 0xfffe
	s_mov_b32 s12, s2
	v_cmp_gt_u16_e32 vcc_lo, 0x63, v0
	s_wait_loadcnt 0x11
	scratch_store_b128 off, v[32:35], off offset:40 ; 16-byte Folded Spill
	s_wait_loadcnt 0x10
	scratch_store_b128 off, v[23:26], off offset:24 ; 16-byte Folded Spill
	;; [unrolled: 2-line block ×7, first 2 shown]
	s_wait_loadcnt 0xa
	v_mul_f64_e32 v[17:18], v[3:4], v[34:35]
	v_mul_f64_e32 v[56:57], v[1:2], v[34:35]
	s_wait_loadcnt 0x8
	v_mul_f64_e32 v[66:67], v[11:12], v[25:26]
	v_mul_f64_e32 v[68:69], v[9:10], v[25:26]
	;; [unrolled: 3-line block ×3, first 2 shown]
	v_mul_f64_e32 v[58:59], v[7:8], v[104:105]
	v_mul_f64_e32 v[60:61], v[5:6], v[104:105]
	s_wait_loadcnt 0x6
	v_mul_f64_e32 v[70:71], v[38:39], v[21:22]
	v_mul_f64_e32 v[72:73], v[36:37], v[21:22]
	s_wait_loadcnt 0x5
	;; [unrolled: 3-line block ×3, first 2 shown]
	v_mul_f64_e32 v[78:79], v[46:47], v[96:97]
	s_wait_loadcnt 0x3
	scratch_store_b128 off, v[27:30], off offset:120 ; 16-byte Folded Spill
	v_mul_f64_e32 v[80:81], v[44:45], v[96:97]
	s_wait_loadcnt 0x2
	v_mul_f64_e32 v[82:83], v[50:51], v[29:30]
	v_mul_f64_e32 v[84:85], v[48:49], v[29:30]
	s_wait_loadcnt 0x0
	v_mul_f64_e32 v[86:87], v[54:55], v[108:109]
	v_mul_f64_e32 v[88:89], v[52:53], v[108:109]
	scratch_store_b128 off, v[106:109], off offset:136 ; 16-byte Folded Spill
	v_fma_f64 v[1:2], v[1:2], v[32:33], v[17:18]
	v_fma_f64 v[3:4], v[3:4], v[32:33], -v[56:57]
	v_fma_f64 v[9:10], v[9:10], v[23:24], v[66:67]
	v_fma_f64 v[11:12], v[11:12], v[23:24], -v[68:69]
	;; [unrolled: 2-line block ×9, first 2 shown]
	ds_store_b128 v184, v[1:4]
	ds_store_b128 v184, v[9:12] offset:1936
	ds_store_b128 v184, v[13:16] offset:11616
	;; [unrolled: 1-line block ×8, first 2 shown]
	global_wb scope:SCOPE_SE
	s_wait_storecnt_dscnt 0x0
	s_wait_kmcnt 0x0
	s_barrier_signal -1
	s_barrier_wait -1
	global_inv scope:SCOPE_SE
	ds_load_b128 v[1:4], v184 offset:5808
	ds_load_b128 v[5:8], v184 offset:11616
	;; [unrolled: 1-line block ×7, first 2 shown]
	ds_load_b128 v[48:51], v184
	ds_load_b128 v[52:55], v184 offset:1936
	global_wb scope:SCOPE_SE
	s_wait_dscnt 0x0
	s_barrier_signal -1
	s_barrier_wait -1
	global_inv scope:SCOPE_SE
	v_add_f64_e32 v[17:18], v[1:2], v[5:6]
	v_add_f64_e32 v[56:57], v[3:4], v[7:8]
	;; [unrolled: 1-line block ×7, first 2 shown]
	v_add_f64_e64 v[68:69], v[3:4], -v[7:8]
	v_add_f64_e32 v[3:4], v[50:51], v[3:4]
	v_add_f64_e32 v[70:71], v[52:53], v[13:14]
	v_add_f64_e32 v[76:77], v[54:55], v[15:16]
	v_add_f64_e32 v[78:79], v[44:45], v[36:37]
	v_add_f64_e32 v[80:81], v[46:47], v[38:39]
	v_add_f64_e64 v[1:2], v[1:2], -v[5:6]
	v_add_f64_e64 v[15:16], v[15:16], -v[11:12]
	;; [unrolled: 1-line block ×5, first 2 shown]
	v_fma_f64 v[17:18], v[17:18], -0.5, v[48:49]
	v_fma_f64 v[48:49], v[56:57], -0.5, v[50:51]
	;; [unrolled: 1-line block ×6, first 2 shown]
	v_add_f64_e32 v[72:73], v[66:67], v[5:6]
	v_add_f64_e32 v[74:75], v[3:4], v[7:8]
	;; [unrolled: 1-line block ×6, first 2 shown]
	v_fma_f64 v[100:101], v[68:69], s[2:3], v[17:18]
	s_wait_alu 0xfffe
	v_fma_f64 v[104:105], v[68:69], s[12:13], v[17:18]
	v_fma_f64 v[102:103], v[1:2], s[12:13], v[48:49]
	;; [unrolled: 1-line block ×11, first 2 shown]
	s_load_b64 s[2:3], s[0:1], 0x38
	v_add_co_u32 v12, s0, 0x79, v255
	v_mul_lo_u16 v1, v0, 3
	s_wait_alu 0xf1ff
	v_add_co_ci_u32_e64 v2, null, 0, 0, s0
	v_add_co_u32 v13, s0, 0xf2, v255
	s_delay_alu instid0(VALU_DEP_3)
	v_and_b32_e32 v3, 0xffff, v1
	v_mul_u32_u24_e32 v4, 3, v12
	s_wait_alu 0xf1ff
	v_add_co_ci_u32_e64 v2, null, 0, 0, s0
	v_mul_u32_u24_e32 v5, 3, v13
	v_lshlrev_b32_e32 v2, 4, v3
	v_lshlrev_b32_e32 v1, 4, v4
	ds_store_b128 v2, v[72:75]
	ds_store_b128 v2, v[100:103] offset:16
	v_lshlrev_b32_e32 v0, 4, v5
	scratch_store_b32 off, v2, off offset:168 ; 4-byte Folded Spill
	ds_store_b128 v2, v[104:107] offset:32
	ds_store_b128 v1, v[96:99]
	ds_store_b128 v1, v[88:91] offset:16
	scratch_store_b32 off, v1, off offset:164 ; 4-byte Folded Spill
	ds_store_b128 v1, v[80:83] offset:32
	ds_store_b128 v0, v[84:87]
	ds_store_b128 v0, v[92:95] offset:16
	scratch_store_b32 off, v0, off offset:160 ; 4-byte Folded Spill
	ds_store_b128 v0, v[108:111] offset:32
	global_wb scope:SCOPE_SE
	s_wait_storecnt_dscnt 0x0
	s_wait_kmcnt 0x0
	s_barrier_signal -1
	s_barrier_wait -1
	global_inv scope:SCOPE_SE
	s_and_saveexec_b32 s0, vcc_lo
	s_cbranch_execz .LBB0_3
; %bb.2:
	ds_load_b128 v[72:75], v184
	ds_load_b128 v[100:103], v184 offset:1584
	ds_load_b128 v[104:107], v184 offset:3168
	;; [unrolled: 1-line block ×10, first 2 shown]
.LBB0_3:
	s_wait_alu 0xfffe
	s_or_b32 exec_lo, exec_lo, s0
	v_and_b32_e32 v14, 0xff, v255
	s_mov_b32 s12, 0xf8bb580b
	s_mov_b32 s0, 0x8eee2c13
	;; [unrolled: 1-line block ×4, first 2 shown]
	v_mul_lo_u16 v0, 0xab, v14
	s_mov_b32 s16, 0x8764f0ba
	s_mov_b32 s14, 0xd9c712b6
	;; [unrolled: 1-line block ×4, first 2 shown]
	v_lshrrev_b16 v19, 9, v0
	s_mov_b32 s15, 0x3fda9628
	s_mov_b32 s21, 0xbfe82f19
	s_mov_b32 s18, 0x7f775887
	s_mov_b32 s22, 0x43842ef
	v_mul_lo_u16 v0, v19, 3
	s_mov_b32 s26, 0xfd768dbf
	s_mov_b32 s19, 0xbfe4f49e
	;; [unrolled: 1-line block ×4, first 2 shown]
	v_sub_nc_u16 v0, v255, v0
	s_mov_b32 s28, 0x640f44db
	s_mov_b32 s24, 0x9bcd5057
	;; [unrolled: 1-line block ×4, first 2 shown]
	v_and_b32_e32 v0, 0xff, v0
	s_mov_b32 s37, 0x3fefac9e
	s_mov_b32 s36, s22
	;; [unrolled: 1-line block ×4, first 2 shown]
	scratch_store_b32 off, v0, off offset:152 ; 4-byte Folded Spill
	v_mul_u32_u24_e32 v0, 10, v0
	s_mov_b32 s30, s26
	s_wait_alu 0xfffe
	s_mov_b32 s34, s12
	s_delay_alu instid0(VALU_DEP_1)
	v_lshlrev_b32_e32 v0, 4, v0
	s_clause 0x9
	global_load_b128 v[52:55], v0, s[10:11]
	global_load_b128 v[76:79], v0, s[10:11] offset:144
	global_load_b128 v[64:67], v0, s[10:11] offset:16
	;; [unrolled: 1-line block ×9, first 2 shown]
	s_wait_loadcnt_dscnt 0x909
	v_mul_f64_e32 v[0:1], v[102:103], v[54:55]
	v_mul_f64_e32 v[2:3], v[100:101], v[54:55]
	s_wait_loadcnt_dscnt 0x800
	v_mul_f64_e32 v[4:5], v[116:117], v[78:79]
	v_mul_f64_e32 v[6:7], v[118:119], v[78:79]
	s_wait_loadcnt 0x7
	v_mul_f64_e32 v[8:9], v[106:107], v[66:67]
	v_mul_f64_e32 v[10:11], v[104:105], v[66:67]
	s_wait_loadcnt 0x6
	;; [unrolled: 3-line block ×4, first 2 shown]
	v_mul_f64_e32 v[140:141], v[86:87], v[38:39]
	v_mul_f64_e32 v[144:145], v[84:85], v[38:39]
	v_fma_f64 v[182:183], v[100:101], v[52:53], -v[0:1]
	v_fma_f64 v[185:186], v[102:103], v[52:53], v[2:3]
	v_fma_f64 v[102:103], v[118:119], v[76:77], v[4:5]
	v_fma_f64 v[100:101], v[116:117], v[76:77], -v[6:7]
	v_mul_f64_e32 v[0:1], v[98:99], v[62:63]
	v_mul_f64_e32 v[2:3], v[96:97], v[62:63]
	;; [unrolled: 1-line block ×4, first 2 shown]
	v_fma_f64 v[124:125], v[104:105], v[64:65], -v[8:9]
	v_fma_f64 v[126:127], v[106:107], v[64:65], v[10:11]
	v_fma_f64 v[106:107], v[114:115], v[68:69], v[15:16]
	v_fma_f64 v[104:105], v[112:113], v[68:69], -v[17:18]
	v_mul_f64_e32 v[15:16], v[90:91], v[50:51]
	v_mul_f64_e32 v[17:18], v[88:89], v[50:51]
	;; [unrolled: 1-line block ×4, first 2 shown]
	v_fma_f64 v[80:81], v[80:81], v[40:41], -v[120:121]
	v_add_f64_e64 v[193:194], v[185:186], -v[102:103]
	v_add_f64_e64 v[195:196], v[182:183], -v[100:101]
	v_fma_f64 v[112:113], v[96:97], v[60:61], -v[0:1]
	v_fma_f64 v[114:115], v[98:99], v[60:61], v[2:3]
	v_fma_f64 v[98:99], v[110:111], v[56:57], v[4:5]
	v_fma_f64 v[96:97], v[108:109], v[56:57], -v[6:7]
	v_add_f64_e32 v[2:3], v[182:183], v[100:101]
	v_add_f64_e32 v[4:5], v[185:186], v[102:103]
	v_add_f64_e64 v[136:137], v[126:127], -v[106:107]
	v_add_f64_e64 v[128:129], v[124:125], -v[104:105]
	v_fma_f64 v[108:109], v[88:89], v[48:49], -v[15:16]
	v_fma_f64 v[110:111], v[90:91], v[48:49], v[17:18]
	v_fma_f64 v[88:89], v[92:93], v[44:45], -v[116:117]
	v_fma_f64 v[90:91], v[94:95], v[44:45], v[118:119]
	v_add_f64_e32 v[94:95], v[124:125], v[104:105]
	v_add_f64_e32 v[132:133], v[126:127], v[106:107]
	v_fma_f64 v[92:93], v[82:83], v[40:41], v[122:123]
	v_fma_f64 v[82:83], v[84:85], v[36:37], -v[140:141]
	v_fma_f64 v[84:85], v[86:87], v[36:37], v[144:145]
	v_mul_f64_e32 v[0:1], s[12:13], v[193:194]
	v_mul_f64_e32 v[6:7], s[12:13], v[195:196]
	;; [unrolled: 1-line block ×4, first 2 shown]
	v_add_f64_e64 v[142:143], v[114:115], -v[98:99]
	v_add_f64_e64 v[138:139], v[112:113], -v[96:97]
	v_add_f64_e32 v[86:87], v[112:113], v[96:97]
	v_add_f64_e32 v[140:141], v[114:115], v[98:99]
	v_mul_f64_e32 v[130:131], s[0:1], v[136:137]
	v_mul_f64_e32 v[134:135], s[0:1], v[128:129]
	;; [unrolled: 1-line block ×4, first 2 shown]
	v_add_f64_e64 v[150:151], v[108:109], -v[88:89]
	v_add_f64_e64 v[158:159], v[110:111], -v[90:91]
	v_add_f64_e32 v[148:149], v[108:109], v[88:89]
	v_add_f64_e32 v[152:153], v[110:111], v[90:91]
	v_add_f64_e64 v[166:167], v[80:81], -v[82:83]
	v_add_f64_e64 v[174:175], v[92:93], -v[84:85]
	v_add_f64_e32 v[164:165], v[92:93], v[84:85]
	v_fma_f64 v[15:16], v[2:3], s[16:17], v[0:1]
	v_fma_f64 v[17:18], v[4:5], s[16:17], -v[6:7]
	v_fma_f64 v[116:117], v[2:3], s[14:15], v[8:9]
	v_fma_f64 v[118:119], v[4:5], s[14:15], -v[10:11]
	v_mul_f64_e32 v[144:145], s[22:23], v[142:143]
	v_mul_f64_e32 v[146:147], s[22:23], v[138:139]
	;; [unrolled: 1-line block ×4, first 2 shown]
	v_fma_f64 v[120:121], v[94:95], s[14:15], v[130:131]
	v_fma_f64 v[122:123], v[132:133], s[14:15], -v[134:135]
	v_fma_f64 v[160:161], v[94:95], s[18:19], v[170:171]
	v_fma_f64 v[162:163], v[132:133], s[18:19], -v[172:173]
	v_mul_f64_e32 v[156:157], s[20:21], v[150:151]
	v_mul_f64_e32 v[154:155], s[20:21], v[158:159]
	;; [unrolled: 1-line block ×7, first 2 shown]
	v_add_f64_e32 v[15:16], v[72:73], v[15:16]
	v_add_f64_e32 v[17:18], v[74:75], v[17:18]
	;; [unrolled: 1-line block ×4, first 2 shown]
	v_fma_f64 v[197:198], v[86:87], s[28:29], v[144:145]
	v_fma_f64 v[199:200], v[140:141], s[28:29], -v[146:147]
	v_fma_f64 v[201:202], v[86:87], s[24:25], v[176:177]
	v_fma_f64 v[203:204], v[140:141], s[24:25], -v[178:179]
	;; [unrolled: 2-line block ×3, first 2 shown]
	v_add_f64_e32 v[15:16], v[120:121], v[15:16]
	v_add_f64_e32 v[17:18], v[122:123], v[17:18]
	v_add_f64_e32 v[116:117], v[160:161], v[116:117]
	v_add_f64_e32 v[118:119], v[162:163], v[118:119]
	v_add_f64_e32 v[160:161], v[80:81], v[82:83]
	v_mul_f64_e32 v[162:163], s[30:31], v[174:175]
	v_fma_f64 v[120:121], v[148:149], s[18:19], v[154:155]
	v_fma_f64 v[122:123], v[152:153], s[18:19], -v[156:157]
	v_add_f64_e32 v[15:16], v[197:198], v[15:16]
	v_add_f64_e32 v[17:18], v[199:200], v[17:18]
	v_add_f64_e32 v[116:117], v[201:202], v[116:117]
	v_add_f64_e32 v[118:119], v[203:204], v[118:119]
	v_fma_f64 v[199:200], v[164:165], s[24:25], -v[168:169]
	v_fma_f64 v[197:198], v[160:161], s[24:25], v[162:163]
	v_fma_f64 v[201:202], v[160:161], s[16:17], v[189:190]
	v_fma_f64 v[203:204], v[164:165], s[16:17], -v[191:192]
	v_add_f64_e32 v[15:16], v[120:121], v[15:16]
	v_add_f64_e32 v[17:18], v[122:123], v[17:18]
	;; [unrolled: 1-line block ×4, first 2 shown]
	s_delay_alu instid0(VALU_DEP_4) | instskip(NEXT) | instid1(VALU_DEP_4)
	v_add_f64_e32 v[120:121], v[197:198], v[15:16]
	v_add_f64_e32 v[122:123], v[199:200], v[17:18]
	s_delay_alu instid0(VALU_DEP_4) | instskip(NEXT) | instid1(VALU_DEP_4)
	v_add_f64_e32 v[116:117], v[201:202], v[116:117]
	v_add_f64_e32 v[118:119], v[203:204], v[118:119]
	v_and_b32_e32 v15, 0xffff, v19
	scratch_store_b32 off, v15, off offset:156 ; 4-byte Folded Spill
	global_wb scope:SCOPE_SE
	s_wait_storecnt 0x0
	s_barrier_signal -1
	s_barrier_wait -1
	global_inv scope:SCOPE_SE
	s_and_saveexec_b32 s33, vcc_lo
	s_cbranch_execz .LBB0_5
; %bb.4:
	v_mul_f64_e32 v[15:16], s[14:15], v[4:5]
	v_mul_f64_e32 v[197:198], s[18:19], v[4:5]
	;; [unrolled: 1-line block ×3, first 2 shown]
	s_mov_b32 s39, 0x3fe82f19
	s_mov_b32 s38, s20
	v_add_f64_e32 v[182:183], v[72:73], v[182:183]
	v_add_f64_e32 v[185:186], v[74:75], v[185:186]
	s_mov_b32 s41, 0x3fed1bb4
	s_mov_b32 s40, s0
	v_mul_f64_e32 v[219:220], s[28:29], v[164:165]
	v_mul_f64_e32 v[221:222], s[22:23], v[174:175]
	s_clause 0x1
	scratch_load_b32 v19, off, off offset:156
	scratch_load_b32 v20, off, off offset:152
	v_add_f64_e32 v[10:11], v[10:11], v[15:16]
	v_mul_f64_e32 v[15:16], s[14:15], v[2:3]
	v_fma_f64 v[199:200], v[195:196], s[38:39], v[197:198]
	v_fma_f64 v[197:198], v[195:196], s[20:21], v[197:198]
	;; [unrolled: 1-line block ×3, first 2 shown]
	v_add_f64_e32 v[10:11], v[74:75], v[10:11]
	v_add_f64_e64 v[8:9], v[15:16], -v[8:9]
	v_mul_f64_e32 v[15:16], s[24:25], v[4:5]
	v_mul_f64_e32 v[4:5], s[16:17], v[4:5]
	v_add_f64_e32 v[199:200], v[74:75], v[199:200]
	v_add_f64_e32 v[197:198], v[74:75], v[197:198]
	;; [unrolled: 1-line block ×4, first 2 shown]
	v_fma_f64 v[17:18], v[195:196], s[26:27], v[15:16]
	v_fma_f64 v[15:16], v[195:196], s[30:31], v[15:16]
	;; [unrolled: 1-line block ×3, first 2 shown]
	v_add_f64_e32 v[4:5], v[6:7], v[4:5]
	v_mul_f64_e32 v[6:7], s[30:31], v[193:194]
	v_mul_f64_e32 v[201:202], s[20:21], v[193:194]
	;; [unrolled: 1-line block ×3, first 2 shown]
	v_add_f64_e32 v[15:16], v[74:75], v[15:16]
	v_add_f64_e32 v[195:196], v[74:75], v[195:196]
	v_fma_f64 v[205:206], v[2:3], s[24:25], v[6:7]
	v_fma_f64 v[6:7], v[2:3], s[24:25], -v[6:7]
	v_fma_f64 v[207:208], v[2:3], s[18:19], -v[201:202]
	v_fma_f64 v[201:202], v[2:3], s[18:19], v[201:202]
	v_fma_f64 v[209:210], v[2:3], s[28:29], -v[193:194]
	v_fma_f64 v[193:194], v[2:3], s[28:29], v[193:194]
	v_mul_f64_e32 v[2:3], s[16:17], v[2:3]
	v_add_f64_e32 v[6:7], v[72:73], v[6:7]
	v_add_f64_e32 v[207:208], v[72:73], v[207:208]
	;; [unrolled: 1-line block ×4, first 2 shown]
	v_add_f64_e64 v[0:1], v[2:3], -v[0:1]
	v_add_f64_e32 v[2:3], v[74:75], v[17:18]
	v_add_f64_e32 v[17:18], v[72:73], v[205:206]
	;; [unrolled: 1-line block ×4, first 2 shown]
	v_mul_f64_e32 v[4:5], s[16:17], v[132:133]
	v_add_f64_e32 v[211:212], v[72:73], v[0:1]
	v_mul_f64_e32 v[72:73], s[34:35], v[136:137]
	s_delay_alu instid0(VALU_DEP_3) | instskip(SKIP_1) | instid1(VALU_DEP_2)
	v_fma_f64 v[0:1], v[128:129], s[12:13], v[4:5]
	v_fma_f64 v[4:5], v[128:129], s[34:35], v[4:5]
	v_add_f64_e32 v[0:1], v[0:1], v[2:3]
	s_delay_alu instid0(VALU_DEP_4) | instskip(NEXT) | instid1(VALU_DEP_3)
	v_fma_f64 v[2:3], v[94:95], s[16:17], v[72:73]
	v_add_f64_e32 v[4:5], v[4:5], v[15:16]
	v_fma_f64 v[15:16], v[94:95], s[16:17], -v[72:73]
	v_mul_f64_e32 v[72:73], s[24:25], v[140:141]
	s_delay_alu instid0(VALU_DEP_4) | instskip(SKIP_1) | instid1(VALU_DEP_4)
	v_add_f64_e32 v[2:3], v[2:3], v[17:18]
	v_mul_f64_e32 v[17:18], s[18:19], v[140:141]
	v_add_f64_e32 v[6:7], v[15:16], v[6:7]
	s_delay_alu instid0(VALU_DEP_4)
	v_add_f64_e32 v[72:73], v[178:179], v[72:73]
	v_mul_f64_e32 v[178:179], s[26:27], v[136:137]
	v_mul_f64_e32 v[136:137], s[36:37], v[136:137]
	s_wait_loadcnt 0x1
	v_mul_u32_u24_e32 v19, 33, v19
	s_wait_loadcnt 0x0
	s_delay_alu instid0(VALU_DEP_1) | instskip(SKIP_3) | instid1(VALU_DEP_3)
	v_add_lshl_u32 v19, v19, v20, 4
	v_fma_f64 v[74:75], v[138:139], s[38:39], v[17:18]
	v_fma_f64 v[15:16], v[138:139], s[20:21], v[17:18]
	v_fma_f64 v[17:18], v[160:161], s[28:29], -v[221:222]
	v_add_f64_e32 v[0:1], v[74:75], v[0:1]
	v_mul_f64_e32 v[74:75], s[20:21], v[142:143]
	s_delay_alu instid0(VALU_DEP_4) | instskip(NEXT) | instid1(VALU_DEP_2)
	v_add_f64_e32 v[4:5], v[15:16], v[4:5]
	v_fma_f64 v[213:214], v[86:87], s[18:19], v[74:75]
	v_fma_f64 v[15:16], v[86:87], s[18:19], -v[74:75]
	v_mul_f64_e32 v[74:75], s[24:25], v[86:87]
	s_delay_alu instid0(VALU_DEP_3) | instskip(SKIP_1) | instid1(VALU_DEP_4)
	v_add_f64_e32 v[2:3], v[213:214], v[2:3]
	v_mul_f64_e32 v[213:214], s[14:15], v[152:153]
	v_add_f64_e32 v[6:7], v[15:16], v[6:7]
	s_delay_alu instid0(VALU_DEP_4) | instskip(SKIP_1) | instid1(VALU_DEP_4)
	v_add_f64_e64 v[74:75], v[74:75], -v[176:177]
	v_mul_f64_e32 v[176:177], s[24:25], v[132:133]
	v_fma_f64 v[215:216], v[150:151], s[0:1], v[213:214]
	v_fma_f64 v[15:16], v[150:151], s[40:41], v[213:214]
	v_mul_f64_e32 v[213:214], s[14:15], v[164:165]
	s_delay_alu instid0(VALU_DEP_3) | instskip(SKIP_1) | instid1(VALU_DEP_4)
	v_add_f64_e32 v[0:1], v[215:216], v[0:1]
	v_mul_f64_e32 v[215:216], s[40:41], v[158:159]
	v_add_f64_e32 v[4:5], v[15:16], v[4:5]
	s_delay_alu instid0(VALU_DEP_2) | instskip(SKIP_1) | instid1(VALU_DEP_2)
	v_fma_f64 v[15:16], v[148:149], s[14:15], -v[215:216]
	v_fma_f64 v[217:218], v[148:149], s[14:15], v[215:216]
	v_add_f64_e32 v[15:16], v[15:16], v[6:7]
	v_fma_f64 v[6:7], v[166:167], s[22:23], v[219:220]
	s_delay_alu instid0(VALU_DEP_3) | instskip(SKIP_1) | instid1(VALU_DEP_3)
	v_add_f64_e32 v[217:218], v[217:218], v[2:3]
	v_fma_f64 v[2:3], v[166:167], s[36:37], v[219:220]
	v_add_f64_e32 v[6:7], v[6:7], v[4:5]
	v_add_f64_e32 v[4:5], v[17:18], v[15:16]
	v_mul_f64_e32 v[15:16], s[18:19], v[132:133]
	v_mul_f64_e32 v[17:18], s[18:19], v[94:95]
	v_add_f64_e32 v[2:3], v[2:3], v[0:1]
	v_fma_f64 v[0:1], v[160:161], s[28:29], v[221:222]
	s_delay_alu instid0(VALU_DEP_4) | instskip(NEXT) | instid1(VALU_DEP_4)
	v_add_f64_e32 v[15:16], v[172:173], v[15:16]
	v_add_f64_e64 v[17:18], v[17:18], -v[170:171]
	v_mul_f64_e32 v[170:171], s[28:29], v[152:153]
	v_mul_f64_e32 v[172:173], s[28:29], v[148:149]
	v_add_f64_e32 v[0:1], v[0:1], v[217:218]
	v_add_f64_e32 v[10:11], v[15:16], v[10:11]
	;; [unrolled: 1-line block ×4, first 2 shown]
	v_mul_f64_e32 v[15:16], s[16:17], v[164:165]
	v_add_f64_e64 v[172:173], v[172:173], -v[180:181]
	v_mul_f64_e32 v[17:18], s[16:17], v[160:161]
	v_mul_f64_e32 v[180:181], s[14:15], v[140:141]
	;; [unrolled: 1-line block ×4, first 2 shown]
	v_add_f64_e32 v[10:11], v[72:73], v[10:11]
	v_add_f64_e32 v[8:9], v[74:75], v[8:9]
	v_fma_f64 v[74:75], v[94:95], s[28:29], -v[136:137]
	v_add_f64_e32 v[15:16], v[191:192], v[15:16]
	v_mul_f64_e32 v[191:192], s[12:13], v[158:159]
	v_add_f64_e64 v[17:18], v[17:18], -v[189:190]
	v_fma_f64 v[72:73], v[138:139], s[40:41], v[180:181]
	v_mul_f64_e32 v[189:190], s[16:17], v[152:153]
	v_fma_f64 v[136:137], v[94:95], s[28:29], v[136:137]
	v_mul_f64_e32 v[158:159], s[30:31], v[158:159]
	v_add_f64_e32 v[10:11], v[170:171], v[10:11]
	v_add_f64_e32 v[8:9], v[172:173], v[8:9]
	v_mul_f64_e32 v[170:171], s[28:29], v[132:133]
	v_mul_f64_e32 v[172:173], s[16:17], v[140:141]
	v_add_f64_e32 v[74:75], v[74:75], v[207:208]
	v_add_f64_e32 v[136:137], v[136:137], v[201:202]
	v_add_f64_e32 v[10:11], v[15:16], v[10:11]
	v_fma_f64 v[15:16], v[128:129], s[26:27], v[176:177]
	v_add_f64_e32 v[8:9], v[17:18], v[8:9]
	v_fma_f64 v[17:18], v[94:95], s[24:25], -v[178:179]
	s_delay_alu instid0(VALU_DEP_3) | instskip(SKIP_1) | instid1(VALU_DEP_3)
	v_add_f64_e32 v[15:16], v[15:16], v[203:204]
	v_mul_f64_e32 v[203:204], s[18:19], v[164:165]
	v_add_f64_e32 v[17:18], v[17:18], v[205:206]
	v_mul_f64_e32 v[205:206], s[20:21], v[174:175]
	v_mul_f64_e32 v[174:175], s[40:41], v[174:175]
	v_add_f64_e32 v[15:16], v[72:73], v[15:16]
	v_fma_f64 v[72:73], v[86:87], s[14:15], -v[187:188]
	s_delay_alu instid0(VALU_DEP_1) | instskip(SKIP_1) | instid1(VALU_DEP_1)
	v_add_f64_e32 v[17:18], v[72:73], v[17:18]
	v_fma_f64 v[72:73], v[150:151], s[12:13], v[189:190]
	v_add_f64_e32 v[15:16], v[72:73], v[15:16]
	v_fma_f64 v[72:73], v[148:149], s[16:17], -v[191:192]
	s_delay_alu instid0(VALU_DEP_1) | instskip(SKIP_1) | instid1(VALU_DEP_1)
	v_add_f64_e32 v[72:73], v[72:73], v[17:18]
	v_fma_f64 v[17:18], v[166:167], s[20:21], v[203:204]
	v_add_f64_e32 v[17:18], v[17:18], v[15:16]
	v_fma_f64 v[15:16], v[160:161], s[18:19], -v[205:206]
	s_delay_alu instid0(VALU_DEP_1) | instskip(SKIP_3) | instid1(VALU_DEP_3)
	v_add_f64_e32 v[15:16], v[15:16], v[72:73]
	v_fma_f64 v[72:73], v[128:129], s[36:37], v[170:171]
	v_fma_f64 v[170:171], v[128:129], s[22:23], v[170:171]
	;; [unrolled: 1-line block ×3, first 2 shown]
	v_add_f64_e32 v[72:73], v[72:73], v[197:198]
	v_fma_f64 v[197:198], v[138:139], s[12:13], v[172:173]
	s_delay_alu instid0(VALU_DEP_4) | instskip(SKIP_2) | instid1(VALU_DEP_4)
	v_add_f64_e32 v[170:171], v[170:171], v[199:200]
	v_fma_f64 v[172:173], v[138:139], s[34:35], v[172:173]
	v_add_f64_e32 v[128:129], v[128:129], v[195:196]
	v_add_f64_e32 v[72:73], v[197:198], v[72:73]
	v_fma_f64 v[197:198], v[86:87], s[16:17], -v[142:143]
	v_fma_f64 v[142:143], v[86:87], s[16:17], v[142:143]
	v_add_f64_e32 v[170:171], v[172:173], v[170:171]
	s_delay_alu instid0(VALU_DEP_3) | instskip(SKIP_1) | instid1(VALU_DEP_4)
	v_add_f64_e32 v[74:75], v[197:198], v[74:75]
	v_mul_f64_e32 v[197:198], s[24:25], v[152:153]
	v_add_f64_e32 v[136:137], v[142:143], v[136:137]
	s_delay_alu instid0(VALU_DEP_2) | instskip(SKIP_1) | instid1(VALU_DEP_2)
	v_fma_f64 v[207:208], v[150:151], s[30:31], v[197:198]
	v_fma_f64 v[142:143], v[150:151], s[26:27], v[197:198]
	v_add_f64_e32 v[72:73], v[207:208], v[72:73]
	v_fma_f64 v[207:208], v[148:149], s[24:25], -v[158:159]
	v_fma_f64 v[158:159], v[148:149], s[24:25], v[158:159]
	s_delay_alu instid0(VALU_DEP_4) | instskip(SKIP_1) | instid1(VALU_DEP_4)
	v_add_f64_e32 v[142:143], v[142:143], v[170:171]
	v_fma_f64 v[170:171], v[160:161], s[14:15], v[174:175]
	v_add_f64_e32 v[207:208], v[207:208], v[74:75]
	s_delay_alu instid0(VALU_DEP_4) | instskip(SKIP_2) | instid1(VALU_DEP_3)
	v_add_f64_e32 v[136:137], v[158:159], v[136:137]
	v_fma_f64 v[158:159], v[166:167], s[0:1], v[213:214]
	v_fma_f64 v[74:75], v[166:167], s[40:41], v[213:214]
	v_add_f64_e32 v[170:171], v[170:171], v[136:137]
	v_fma_f64 v[136:137], v[138:139], s[0:1], v[180:181]
	v_fma_f64 v[138:139], v[150:151], s[34:35], v[189:190]
	v_fma_f64 v[150:151], v[94:95], s[24:25], v[178:179]
	v_add_f64_e32 v[172:173], v[158:159], v[142:143]
	v_fma_f64 v[142:143], v[166:167], s[38:39], v[203:204]
	v_mul_f64_e32 v[94:95], s[14:15], v[94:95]
	v_add_f64_e32 v[74:75], v[74:75], v[72:73]
	v_fma_f64 v[72:73], v[160:161], s[14:15], -v[174:175]
	v_add_f64_e32 v[128:129], v[136:137], v[128:129]
	v_fma_f64 v[136:137], v[86:87], s[14:15], v[187:188]
	v_add_f64_e32 v[150:151], v[150:151], v[193:194]
	v_mul_f64_e32 v[86:87], s[28:29], v[86:87]
	v_add_f64_e64 v[94:95], v[94:95], -v[130:131]
	v_mul_f64_e32 v[130:131], s[28:29], v[140:141]
	v_mul_f64_e32 v[140:141], s[24:25], v[164:165]
	v_add_f64_e32 v[72:73], v[72:73], v[207:208]
	v_add_f64_e32 v[128:129], v[138:139], v[128:129]
	v_fma_f64 v[138:139], v[148:149], s[16:17], v[191:192]
	v_add_f64_e32 v[136:137], v[136:137], v[150:151]
	v_add_f64_e64 v[86:87], v[86:87], -v[144:145]
	v_fma_f64 v[150:151], v[160:161], s[18:19], v[205:206]
	v_add_f64_e32 v[94:95], v[94:95], v[211:212]
	v_add_f64_e32 v[130:131], v[146:147], v[130:131]
	;; [unrolled: 1-line block ×5, first 2 shown]
	v_mul_f64_e32 v[128:129], s[14:15], v[132:133]
	v_mul_f64_e32 v[132:133], s[18:19], v[152:153]
	v_add_f64_e32 v[86:87], v[86:87], v[94:95]
	v_mul_f64_e32 v[94:95], s[24:25], v[160:161]
	v_add_f64_e32 v[136:137], v[150:151], v[136:137]
	v_add_f64_e32 v[128:129], v[134:135], v[128:129]
	v_mul_f64_e32 v[134:135], s[18:19], v[148:149]
	v_add_f64_e32 v[132:133], v[156:157], v[132:133]
	v_add_f64_e64 v[94:95], v[94:95], -v[162:163]
	s_delay_alu instid0(VALU_DEP_4) | instskip(NEXT) | instid1(VALU_DEP_4)
	v_add_f64_e32 v[128:129], v[128:129], v[209:210]
	v_add_f64_e64 v[134:135], v[134:135], -v[154:155]
	s_delay_alu instid0(VALU_DEP_2) | instskip(NEXT) | instid1(VALU_DEP_2)
	v_add_f64_e32 v[128:129], v[130:131], v[128:129]
	v_add_f64_e32 v[86:87], v[134:135], v[86:87]
	s_delay_alu instid0(VALU_DEP_2) | instskip(NEXT) | instid1(VALU_DEP_1)
	v_add_f64_e32 v[128:129], v[132:133], v[128:129]
	v_add_f64_e32 v[130:131], v[140:141], v[128:129]
	s_delay_alu instid0(VALU_DEP_3) | instskip(SKIP_2) | instid1(VALU_DEP_2)
	v_add_f64_e32 v[128:129], v[94:95], v[86:87]
	v_add_f64_e32 v[86:87], v[185:186], v[126:127]
	;; [unrolled: 1-line block ×4, first 2 shown]
	s_delay_alu instid0(VALU_DEP_2) | instskip(NEXT) | instid1(VALU_DEP_2)
	v_add_f64_e32 v[94:95], v[94:95], v[112:113]
	v_add_f64_e32 v[86:87], v[86:87], v[110:111]
	s_delay_alu instid0(VALU_DEP_2) | instskip(NEXT) | instid1(VALU_DEP_2)
	v_add_f64_e32 v[94:95], v[94:95], v[108:109]
	v_add_f64_e32 v[86:87], v[86:87], v[92:93]
	;; [unrolled: 3-line block ×7, first 2 shown]
	s_delay_alu instid0(VALU_DEP_2)
	v_add_f64_e32 v[80:81], v[80:81], v[100:101]
	ds_store_b128 v19, v[8:11] offset:96
	ds_store_b128 v19, v[15:18] offset:144
	;; [unrolled: 1-line block ×9, first 2 shown]
	ds_store_b128 v19, v[80:83]
	ds_store_b128 v19, v[120:123] offset:480
.LBB0_5:
	s_or_b32 exec_lo, exec_lo, s33
	v_and_b32_e32 v0, 0xffff, v13
	v_mul_lo_u16 v1, 0xf9, v14
	v_and_b32_e32 v2, 0xff, v12
	global_wb scope:SCOPE_SE
	s_wait_dscnt 0x0
	s_barrier_signal -1
	v_mul_u32_u24_e32 v0, 0xf83f, v0
	v_lshrrev_b16 v20, 13, v1
	v_mul_lo_u16 v1, 0xf9, v2
	s_barrier_wait -1
	global_inv scope:SCOPE_SE
	v_lshrrev_b32_e32 v21, 21, v0
	v_mul_lo_u16 v0, v20, 33
	v_lshrrev_b16 v22, 13, v1
	s_mov_b32 s13, 0xbfebb67a
	s_delay_alu instid0(VALU_DEP_3) | instskip(NEXT) | instid1(VALU_DEP_3)
	v_mul_lo_u16 v1, v21, 33
	v_sub_nc_u16 v0, v255, v0
	s_delay_alu instid0(VALU_DEP_3) | instskip(NEXT) | instid1(VALU_DEP_3)
	v_mul_lo_u16 v2, v22, 33
	v_sub_nc_u16 v23, v13, v1
	s_delay_alu instid0(VALU_DEP_3) | instskip(NEXT) | instid1(VALU_DEP_3)
	v_and_b32_e32 v24, 0xff, v0
	v_sub_nc_u16 v0, v12, v2
	s_delay_alu instid0(VALU_DEP_3) | instskip(NEXT) | instid1(VALU_DEP_3)
	v_lshlrev_b16 v1, 5, v23
	v_lshlrev_b32_e32 v2, 5, v24
	s_delay_alu instid0(VALU_DEP_3)
	v_and_b32_e32 v25, 0xff, v0
	s_clause 0x1
	global_load_b128 v[80:83], v2, s[10:11] offset:496
	global_load_b128 v[84:87], v2, s[10:11] offset:480
	v_and_b32_e32 v0, 0xffff, v1
	v_lshlrev_b32_e32 v2, 5, v25
	s_delay_alu instid0(VALU_DEP_2)
	v_add_co_u32 v0, s0, s10, v0
	s_wait_alu 0xf1ff
	v_add_co_ci_u32_e64 v1, null, s11, 0, s0
	s_clause 0x3
	global_load_b128 v[92:95], v2, s[10:11] offset:480
	global_load_b128 v[88:91], v2, s[10:11] offset:496
	global_load_b128 v[100:103], v[0:1], off offset:480
	global_load_b128 v[96:99], v[0:1], off offset:496
	ds_load_b128 v[0:3], v184 offset:5808
	ds_load_b128 v[4:7], v184 offset:11616
	ds_load_b128 v[8:11], v184 offset:7744
	ds_load_b128 v[12:15], v184 offset:13552
	ds_load_b128 v[16:19], v184 offset:9680
	ds_load_b128 v[72:75], v184 offset:15488
	ds_load_b128 v[104:107], v184 offset:3872
	s_mov_b32 s0, 0xe8584caa
	s_mov_b32 s1, 0x3febb67a
	s_wait_alu 0xfffe
	s_mov_b32 s12, s0
	s_wait_loadcnt_dscnt 0x505
	v_mul_f64_e32 v[110:111], v[6:7], v[82:83]
	s_wait_loadcnt 0x4
	v_mul_f64_e32 v[108:109], v[2:3], v[86:87]
	v_mul_f64_e32 v[112:113], v[0:1], v[86:87]
	;; [unrolled: 1-line block ×3, first 2 shown]
	s_wait_loadcnt_dscnt 0x304
	v_mul_f64_e32 v[124:125], v[10:11], v[94:95]
	s_wait_loadcnt_dscnt 0x203
	v_mul_f64_e32 v[126:127], v[14:15], v[90:91]
	v_mul_f64_e32 v[128:129], v[8:9], v[94:95]
	;; [unrolled: 1-line block ×3, first 2 shown]
	s_wait_loadcnt_dscnt 0x102
	v_mul_f64_e32 v[132:133], v[18:19], v[102:103]
	s_wait_loadcnt_dscnt 0x1
	v_mul_f64_e32 v[134:135], v[74:75], v[98:99]
	v_mul_f64_e32 v[136:137], v[16:17], v[102:103]
	;; [unrolled: 1-line block ×3, first 2 shown]
	v_fma_f64 v[110:111], v[4:5], v[80:81], -v[110:111]
	v_fma_f64 v[108:109], v[0:1], v[84:85], -v[108:109]
	v_fma_f64 v[112:113], v[2:3], v[84:85], v[112:113]
	v_fma_f64 v[114:115], v[6:7], v[80:81], v[114:115]
	ds_load_b128 v[0:3], v184
	ds_load_b128 v[4:7], v184 offset:1936
	global_wb scope:SCOPE_SE
	s_wait_dscnt 0x0
	s_barrier_signal -1
	s_barrier_wait -1
	global_inv scope:SCOPE_SE
	v_fma_f64 v[8:9], v[8:9], v[92:93], -v[124:125]
	v_fma_f64 v[12:13], v[12:13], v[88:89], -v[126:127]
	v_fma_f64 v[10:11], v[10:11], v[92:93], v[128:129]
	v_fma_f64 v[14:15], v[14:15], v[88:89], v[130:131]
	v_fma_f64 v[16:17], v[16:17], v[100:101], -v[132:133]
	v_fma_f64 v[72:73], v[72:73], v[96:97], -v[134:135]
	v_fma_f64 v[18:19], v[18:19], v[100:101], v[136:137]
	v_fma_f64 v[74:75], v[74:75], v[96:97], v[138:139]
	v_add_f64_e32 v[124:125], v[108:109], v[110:111]
	v_add_f64_e32 v[136:137], v[0:1], v[108:109]
	;; [unrolled: 1-line block ×3, first 2 shown]
	v_add_f64_e64 v[138:139], v[112:113], -v[114:115]
	v_add_f64_e32 v[112:113], v[2:3], v[112:113]
	v_add_f64_e64 v[152:153], v[108:109], -v[110:111]
	v_add_f64_e32 v[140:141], v[4:5], v[8:9]
	v_add_f64_e32 v[128:129], v[8:9], v[12:13]
	;; [unrolled: 1-line block ×8, first 2 shown]
	v_add_f64_e64 v[10:11], v[10:11], -v[14:15]
	v_add_f64_e64 v[8:9], v[8:9], -v[12:13]
	;; [unrolled: 1-line block ×4, first 2 shown]
	v_fma_f64 v[0:1], v[124:125], -0.5, v[0:1]
	v_add_f64_e32 v[148:149], v[136:137], v[110:111]
	v_fma_f64 v[2:3], v[126:127], -0.5, v[2:3]
	v_add_f64_e32 v[150:151], v[112:113], v[114:115]
	;; [unrolled: 2-line block ×6, first 2 shown]
	v_fma_f64 v[108:109], v[138:139], s[0:1], v[0:1]
	s_wait_alu 0xfffe
	v_fma_f64 v[124:125], v[138:139], s[12:13], v[0:1]
	v_fma_f64 v[110:111], v[152:153], s[12:13], v[2:3]
	;; [unrolled: 1-line block ×3, first 2 shown]
	v_and_b32_e32 v0, 0xffff, v20
	v_and_b32_e32 v1, 0xffff, v22
	v_mad_u16 v2, 0x63, v21, v23
	v_fma_f64 v[132:133], v[10:11], s[0:1], v[4:5]
	v_fma_f64 v[144:145], v[10:11], s[12:13], v[4:5]
	;; [unrolled: 1-line block ×8, first 2 shown]
	v_mul_u32_u24_e32 v0, 0x63, v0
	v_mul_u32_u24_e32 v1, 0x63, v1
	v_and_b32_e32 v2, 0xffff, v2
	v_add_co_u32 v156, s0, s8, v184
	s_wait_alu 0xf1ff
	v_add_co_ci_u32_e64 v157, null, s9, 0, s0
	v_add_lshl_u32 v3, v0, v24, 4
	v_add_lshl_u32 v1, v1, v25, 4
	v_lshlrev_b32_e32 v0, 4, v2
	ds_store_b128 v3, v[148:151]
	ds_store_b128 v3, v[108:111] offset:528
	scratch_store_b32 off, v3, off offset:180 ; 4-byte Folded Spill
	ds_store_b128 v3, v[124:127] offset:1056
	ds_store_b128 v1, v[128:131]
	ds_store_b128 v1, v[132:135] offset:528
	scratch_store_b32 off, v1, off offset:176 ; 4-byte Folded Spill
	ds_store_b128 v1, v[144:147] offset:1056
	;; [unrolled: 4-line block ×3, first 2 shown]
	global_wb scope:SCOPE_SE
	s_wait_storecnt_dscnt 0x0
	s_barrier_signal -1
	s_barrier_wait -1
	global_inv scope:SCOPE_SE
	s_and_saveexec_b32 s0, vcc_lo
	s_cbranch_execz .LBB0_7
; %bb.6:
	ds_load_b128 v[148:151], v184
	ds_load_b128 v[108:111], v184 offset:1584
	ds_load_b128 v[124:127], v184 offset:3168
	ds_load_b128 v[128:131], v184 offset:4752
	ds_load_b128 v[132:135], v184 offset:6336
	ds_load_b128 v[144:147], v184 offset:7920
	ds_load_b128 v[140:143], v184 offset:9504
	ds_load_b128 v[136:139], v184 offset:11088
	ds_load_b128 v[152:155], v184 offset:12672
	ds_load_b128 v[116:119], v184 offset:14256
	ds_load_b128 v[120:123], v184 offset:15840
.LBB0_7:
	s_wait_alu 0xfffe
	s_or_b32 exec_lo, exec_lo, s0
	v_add_nc_u32_e32 v0, 0xffffff9d, v255
	s_mov_b32 s14, 0xf8bb580b
	s_mov_b32 s15, 0xbfe14ced
	;; [unrolled: 1-line block ×4, first 2 shown]
	v_cndmask_b32_e32 v0, v0, v255, vcc_lo
	s_mov_b32 s20, 0x43842ef
	s_mov_b32 s21, 0xbfefac9e
	;; [unrolled: 1-line block ×4, first 2 shown]
	v_mul_i32_i24_e32 v1, 0xa0, v0
	v_mul_hi_i32_i24_e32 v2, 0xa0, v0
	s_mov_b32 s28, 0xbb3a28a1
	s_mov_b32 s29, 0xbfe82f19
	;; [unrolled: 1-line block ×3, first 2 shown]
	v_add_co_u32 v0, s0, s10, v1
	s_wait_alu 0xf1ff
	v_add_co_ci_u32_e64 v1, s0, s11, v2, s0
	s_mov_b32 s10, 0x8764f0ba
	s_mov_b32 s11, 0x3feaeb8c
	;; [unrolled: 1-line block ×3, first 2 shown]
	s_clause 0x1
	global_load_b128 v[72:75], v[0:1], off offset:1536
	global_load_b128 v[104:107], v[0:1], off offset:1552
	s_mov_b32 s1, 0x3fda9628
	s_mov_b32 s24, s26
	;; [unrolled: 1-line block ×5, first 2 shown]
	s_wait_alu 0xfffe
	s_mov_b32 s34, s20
	s_mov_b32 s31, 0x3fe14ced
	;; [unrolled: 1-line block ×3, first 2 shown]
	s_wait_loadcnt_dscnt 0x109
	v_mul_f64_e32 v[2:3], v[110:111], v[74:75]
	s_delay_alu instid0(VALU_DEP_1) | instskip(SKIP_1) | instid1(VALU_DEP_1)
	v_fma_f64 v[207:208], v[108:109], v[72:73], -v[2:3]
	v_mul_f64_e32 v[2:3], v[108:109], v[74:75]
	v_fma_f64 v[209:210], v[110:111], v[72:73], v[2:3]
	s_clause 0x1
	global_load_b128 v[108:111], v[0:1], off offset:1680
	global_load_b128 v[112:115], v[0:1], off offset:1664
	s_wait_loadcnt_dscnt 0x100
	v_mul_f64_e32 v[2:3], v[120:121], v[110:111]
	s_delay_alu instid0(VALU_DEP_1) | instskip(SKIP_1) | instid1(VALU_DEP_2)
	v_fma_f64 v[22:23], v[122:123], v[108:109], v[2:3]
	v_mul_f64_e32 v[2:3], v[122:123], v[110:111]
	v_add_f64_e64 v[8:9], v[209:210], -v[22:23]
	s_delay_alu instid0(VALU_DEP_2) | instskip(SKIP_2) | instid1(VALU_DEP_4)
	v_fma_f64 v[24:25], v[120:121], v[108:109], -v[2:3]
	v_mul_f64_e32 v[2:3], v[126:127], v[106:107]
	v_add_f64_e32 v[12:13], v[209:210], v[22:23]
	v_mul_f64_e32 v[4:5], s[14:15], v[8:9]
	s_delay_alu instid0(VALU_DEP_4) | instskip(NEXT) | instid1(VALU_DEP_4)
	v_add_f64_e32 v[6:7], v[207:208], v[24:25]
	v_fma_f64 v[166:167], v[124:125], v[104:105], -v[2:3]
	v_mul_f64_e32 v[2:3], v[124:125], v[106:107]
	v_add_f64_e64 v[14:15], v[207:208], -v[24:25]
	s_delay_alu instid0(VALU_DEP_2) | instskip(SKIP_2) | instid1(VALU_DEP_3)
	v_fma_f64 v[168:169], v[126:127], v[104:105], v[2:3]
	s_wait_loadcnt 0x0
	v_mul_f64_e32 v[2:3], v[116:117], v[114:115]
	v_mul_f64_e32 v[10:11], s[14:15], v[14:15]
	;; [unrolled: 1-line block ×3, first 2 shown]
	s_delay_alu instid0(VALU_DEP_3) | instskip(SKIP_1) | instid1(VALU_DEP_2)
	v_fma_f64 v[26:27], v[118:119], v[112:113], v[2:3]
	v_mul_f64_e32 v[2:3], v[118:119], v[114:115]
	v_add_f64_e64 v[203:204], v[168:169], -v[26:27]
	s_delay_alu instid0(VALU_DEP_2)
	v_fma_f64 v[164:165], v[116:117], v[112:113], -v[2:3]
	s_clause 0x1
	global_load_b128 v[116:119], v[0:1], off offset:1568
	global_load_b128 v[124:127], v[0:1], off offset:1584
	v_add_f64_e32 v[195:196], v[168:169], v[26:27]
	v_mul_f64_e32 v[28:29], s[12:13], v[203:204]
	v_add_f64_e32 v[191:192], v[166:167], v[164:165]
	v_add_f64_e64 v[205:206], v[166:167], -v[164:165]
	v_mul_f64_e32 v[243:244], s[28:29], v[203:204]
	s_delay_alu instid0(VALU_DEP_2) | instskip(SKIP_1) | instid1(VALU_DEP_2)
	v_mul_f64_e32 v[30:31], s[12:13], v[205:206]
	v_mul_f64_e32 v[247:248], s[28:29], v[205:206]
	v_fma_f64 v[16:17], v[195:196], s[0:1], -v[30:31]
	s_wait_loadcnt 0x1
	v_mul_f64_e32 v[2:3], v[130:131], v[118:119]
	s_delay_alu instid0(VALU_DEP_1) | instskip(SKIP_1) | instid1(VALU_DEP_1)
	v_fma_f64 v[170:171], v[128:129], v[116:117], -v[2:3]
	v_mul_f64_e32 v[2:3], v[128:129], v[118:119]
	v_fma_f64 v[172:173], v[130:131], v[116:117], v[2:3]
	s_clause 0x1
	global_load_b128 v[120:123], v[0:1], off offset:1648
	global_load_b128 v[128:131], v[0:1], off offset:1632
	s_wait_loadcnt 0x1
	v_mul_f64_e32 v[2:3], v[152:153], v[122:123]
	s_delay_alu instid0(VALU_DEP_1) | instskip(SKIP_1) | instid1(VALU_DEP_2)
	v_fma_f64 v[174:175], v[154:155], v[120:121], v[2:3]
	v_mul_f64_e32 v[2:3], v[154:155], v[122:123]
	v_add_f64_e64 v[229:230], v[172:173], -v[174:175]
	s_delay_alu instid0(VALU_DEP_2) | instskip(SKIP_2) | instid1(VALU_DEP_4)
	v_fma_f64 v[152:153], v[152:153], v[120:121], -v[2:3]
	v_mul_f64_e32 v[2:3], v[134:135], v[126:127]
	v_add_f64_e32 v[211:212], v[172:173], v[174:175]
	v_mul_f64_e32 v[32:33], s[20:21], v[229:230]
	s_delay_alu instid0(VALU_DEP_4) | instskip(NEXT) | instid1(VALU_DEP_4)
	v_add_f64_e32 v[199:200], v[170:171], v[152:153]
	v_fma_f64 v[176:177], v[132:133], v[124:125], -v[2:3]
	v_mul_f64_e32 v[2:3], v[132:133], v[126:127]
	v_add_f64_e64 v[227:228], v[170:171], -v[152:153]
	v_mul_f64_e32 v[245:246], s[26:27], v[229:230]
	s_delay_alu instid0(VALU_DEP_3) | instskip(SKIP_2) | instid1(VALU_DEP_4)
	v_fma_f64 v[180:181], v[134:135], v[124:125], v[2:3]
	s_wait_loadcnt 0x0
	v_mul_f64_e32 v[2:3], v[138:139], v[130:131]
	v_mul_f64_e32 v[213:214], s[20:21], v[227:228]
	;; [unrolled: 1-line block ×3, first 2 shown]
	s_delay_alu instid0(VALU_DEP_3) | instskip(SKIP_1) | instid1(VALU_DEP_2)
	v_fma_f64 v[154:155], v[136:137], v[128:129], -v[2:3]
	v_mul_f64_e32 v[2:3], v[136:137], v[130:131]
	v_add_f64_e32 v[215:216], v[176:177], v[154:155]
	s_delay_alu instid0(VALU_DEP_2)
	v_fma_f64 v[178:179], v[138:139], v[128:129], v[2:3]
	s_clause 0x1
	global_load_b128 v[132:135], v[0:1], off offset:1600
	global_load_b128 v[136:139], v[0:1], off offset:1616
	v_fma_f64 v[2:3], v[191:192], s[0:1], v[28:29]
	v_add_f64_e64 v[235:236], v[176:177], -v[154:155]
	v_add_f64_e64 v[237:238], v[180:181], -v[178:179]
	v_add_f64_e32 v[223:224], v[180:181], v[178:179]
	s_delay_alu instid0(VALU_DEP_3) | instskip(NEXT) | instid1(VALU_DEP_3)
	v_mul_f64_e32 v[225:226], s[28:29], v[235:236]
	v_mul_f64_e32 v[217:218], s[28:29], v[237:238]
	s_wait_alu 0xfffe
	v_mul_f64_e32 v[249:250], s[34:35], v[237:238]
	s_wait_loadcnt 0x1
	v_mul_f64_e32 v[0:1], v[146:147], v[134:135]
	s_delay_alu instid0(VALU_DEP_1) | instskip(SKIP_1) | instid1(VALU_DEP_1)
	v_fma_f64 v[182:183], v[144:145], v[132:133], -v[0:1]
	v_mul_f64_e32 v[0:1], v[144:145], v[134:135]
	v_fma_f64 v[187:188], v[146:147], v[132:133], v[0:1]
	s_wait_loadcnt 0x0
	v_mul_f64_e32 v[0:1], v[142:143], v[138:139]
	s_delay_alu instid0(VALU_DEP_1) | instskip(SKIP_2) | instid1(VALU_DEP_3)
	v_fma_f64 v[185:186], v[140:141], v[136:137], -v[0:1]
	v_mul_f64_e32 v[0:1], v[140:141], v[138:139]
	v_fma_f64 v[140:141], v[195:196], s[18:19], -v[247:248]
	v_add_f64_e32 v[219:220], v[182:183], v[185:186]
	s_delay_alu instid0(VALU_DEP_3) | instskip(SKIP_2) | instid1(VALU_DEP_3)
	v_fma_f64 v[189:190], v[142:143], v[136:137], v[0:1]
	v_fma_f64 v[0:1], v[6:7], s[10:11], v[4:5]
	v_add_f64_e64 v[239:240], v[182:183], -v[185:186]
	v_add_f64_e64 v[241:242], v[187:188], -v[189:190]
	s_delay_alu instid0(VALU_DEP_3) | instskip(SKIP_1) | instid1(VALU_DEP_4)
	v_add_f64_e32 v[0:1], v[148:149], v[0:1]
	v_add_f64_e32 v[231:232], v[187:188], v[189:190]
	v_mul_f64_e32 v[233:234], s[24:25], v[239:240]
	s_delay_alu instid0(VALU_DEP_4) | instskip(NEXT) | instid1(VALU_DEP_4)
	v_mul_f64_e32 v[221:222], s[24:25], v[241:242]
	v_add_f64_e32 v[0:1], v[2:3], v[0:1]
	v_fma_f64 v[2:3], v[12:13], s[10:11], -v[10:11]
	v_mul_f64_e32 v[251:252], s[30:31], v[241:242]
	s_delay_alu instid0(VALU_DEP_2) | instskip(NEXT) | instid1(VALU_DEP_1)
	v_add_f64_e32 v[2:3], v[150:151], v[2:3]
	v_add_f64_e32 v[2:3], v[16:17], v[2:3]
	v_fma_f64 v[16:17], v[199:200], s[16:17], v[32:33]
	s_delay_alu instid0(VALU_DEP_1) | instskip(SKIP_1) | instid1(VALU_DEP_1)
	v_add_f64_e32 v[0:1], v[16:17], v[0:1]
	v_fma_f64 v[16:17], v[211:212], s[16:17], -v[213:214]
	v_add_f64_e32 v[2:3], v[16:17], v[2:3]
	v_fma_f64 v[16:17], v[215:216], s[18:19], v[217:218]
	s_delay_alu instid0(VALU_DEP_1) | instskip(SKIP_1) | instid1(VALU_DEP_1)
	v_add_f64_e32 v[0:1], v[16:17], v[0:1]
	v_fma_f64 v[16:17], v[223:224], s[18:19], -v[225:226]
	v_add_f64_e32 v[2:3], v[16:17], v[2:3]
	v_fma_f64 v[16:17], v[219:220], s[22:23], v[221:222]
	s_delay_alu instid0(VALU_DEP_1) | instskip(SKIP_2) | instid1(VALU_DEP_2)
	v_add_f64_e32 v[144:145], v[16:17], v[0:1]
	v_fma_f64 v[0:1], v[231:232], s[22:23], -v[233:234]
	v_mul_f64_e32 v[16:17], s[12:13], v[8:9]
	v_add_f64_e32 v[146:147], v[0:1], v[2:3]
	s_delay_alu instid0(VALU_DEP_2) | instskip(SKIP_1) | instid1(VALU_DEP_2)
	v_fma_f64 v[0:1], v[6:7], s[0:1], v[16:17]
	v_fma_f64 v[2:3], v[191:192], s[18:19], v[243:244]
	v_add_f64_e32 v[0:1], v[148:149], v[0:1]
	s_delay_alu instid0(VALU_DEP_1) | instskip(SKIP_1) | instid1(VALU_DEP_1)
	v_add_f64_e32 v[0:1], v[2:3], v[0:1]
	v_fma_f64 v[2:3], v[12:13], s[0:1], -v[18:19]
	v_add_f64_e32 v[2:3], v[150:151], v[2:3]
	s_delay_alu instid0(VALU_DEP_1) | instskip(SKIP_1) | instid1(VALU_DEP_1)
	v_add_f64_e32 v[2:3], v[140:141], v[2:3]
	v_fma_f64 v[140:141], v[199:200], s[22:23], v[245:246]
	v_add_f64_e32 v[0:1], v[140:141], v[0:1]
	v_fma_f64 v[140:141], v[211:212], s[22:23], -v[253:254]
	s_delay_alu instid0(VALU_DEP_1) | instskip(SKIP_1) | instid1(VALU_DEP_1)
	v_add_f64_e32 v[2:3], v[140:141], v[2:3]
	v_fma_f64 v[140:141], v[215:216], s[16:17], v[249:250]
	v_add_f64_e32 v[140:141], v[140:141], v[0:1]
	v_mul_f64_e32 v[0:1], s[34:35], v[235:236]
	s_delay_alu instid0(VALU_DEP_1) | instskip(NEXT) | instid1(VALU_DEP_1)
	v_fma_f64 v[142:143], v[223:224], s[16:17], -v[0:1]
	v_add_f64_e32 v[142:143], v[142:143], v[2:3]
	v_fma_f64 v[2:3], v[219:220], s[10:11], v[251:252]
	s_delay_alu instid0(VALU_DEP_1) | instskip(SKIP_1) | instid1(VALU_DEP_1)
	v_add_f64_e32 v[140:141], v[2:3], v[140:141]
	v_mul_f64_e32 v[2:3], s[30:31], v[239:240]
	v_fma_f64 v[20:21], v[231:232], s[10:11], -v[2:3]
	s_delay_alu instid0(VALU_DEP_1)
	v_add_f64_e32 v[142:143], v[20:21], v[142:143]
	s_and_saveexec_b32 s33, vcc_lo
	s_cbranch_execz .LBB0_9
; %bb.8:
	v_mul_f64_e32 v[20:21], s[0:1], v[12:13]
	s_clause 0x3
	scratch_store_b64 off, v[22:23], off offset:184
	scratch_store_b64 off, v[24:25], off offset:192
	;; [unrolled: 1-line block ×4, first 2 shown]
	v_mul_f64_e32 v[24:25], s[18:19], v[12:13]
	v_mul_f64_e32 v[28:29], s[16:17], v[12:13]
	s_mov_b32 s37, 0x3fe82f19
	s_mov_b32 s36, s28
	s_clause 0x1
	scratch_store_b64 off, v[30:31], off offset:224
	scratch_store_b64 off, v[32:33], off offset:232
	v_add_f64_e32 v[209:210], v[150:151], v[209:210]
	s_mov_b32 s39, 0x3fed1bb4
	s_mov_b32 s38, s12
	v_mul_f64_e32 v[160:161], s[16:17], v[231:232]
	v_mul_f64_e32 v[162:163], s[20:21], v[241:242]
	v_add_f64_e32 v[18:19], v[18:19], v[20:21]
	v_mul_f64_e32 v[20:21], s[0:1], v[6:7]
	s_wait_alu 0xfffe
	v_fma_f64 v[26:27], v[14:15], s[36:37], v[24:25]
	v_fma_f64 v[24:25], v[14:15], s[28:29], v[24:25]
	;; [unrolled: 1-line block ×3, first 2 shown]
	v_add_f64_e32 v[18:19], v[150:151], v[18:19]
	v_add_f64_e64 v[16:17], v[20:21], -v[16:17]
	v_mul_f64_e32 v[20:21], s[22:23], v[12:13]
	v_mul_f64_e32 v[12:13], s[10:11], v[12:13]
	v_add_f64_e32 v[26:27], v[150:151], v[26:27]
	v_add_f64_e32 v[24:25], v[150:151], v[24:25]
	;; [unrolled: 1-line block ×4, first 2 shown]
	v_fma_f64 v[22:23], v[14:15], s[26:27], v[20:21]
	v_fma_f64 v[20:21], v[14:15], s[24:25], v[20:21]
	;; [unrolled: 1-line block ×3, first 2 shown]
	v_add_f64_e32 v[10:11], v[10:11], v[12:13]
	v_mul_f64_e32 v[12:13], s[24:25], v[8:9]
	v_mul_f64_e32 v[28:29], s[28:29], v[8:9]
	;; [unrolled: 1-line block ×3, first 2 shown]
	v_add_f64_e32 v[20:21], v[150:151], v[20:21]
	v_add_f64_e32 v[201:202], v[150:151], v[10:11]
	v_fma_f64 v[32:33], v[6:7], s[22:23], v[12:13]
	v_fma_f64 v[12:13], v[6:7], s[22:23], -v[12:13]
	v_fma_f64 v[34:35], v[6:7], s[18:19], -v[28:29]
	v_fma_f64 v[28:29], v[6:7], s[18:19], v[28:29]
	v_fma_f64 v[193:194], v[6:7], s[16:17], -v[8:9]
	v_fma_f64 v[8:9], v[6:7], s[16:17], v[8:9]
	v_mul_f64_e32 v[6:7], s[10:11], v[6:7]
	v_mul_f64_e32 v[10:11], s[30:31], v[203:204]
	v_add_f64_e32 v[12:13], v[148:149], v[12:13]
	v_add_f64_e32 v[34:35], v[148:149], v[34:35]
	;; [unrolled: 1-line block ×4, first 2 shown]
	v_add_f64_e64 v[4:5], v[6:7], -v[4:5]
	v_add_f64_e32 v[6:7], v[148:149], v[207:208]
	v_mul_f64_e32 v[8:9], s[10:11], v[195:196]
	s_delay_alu instid0(VALU_DEP_3)
	v_add_f64_e32 v[158:159], v[148:149], v[4:5]
	scratch_store_b64 off, v[6:7], off offset:208 ; 8-byte Folded Spill
	v_add_f64_e32 v[6:7], v[150:151], v[22:23]
	v_fma_f64 v[4:5], v[205:206], s[14:15], v[8:9]
	v_add_f64_e32 v[22:23], v[148:149], v[32:33]
	v_add_f64_e32 v[32:33], v[148:149], v[193:194]
	;; [unrolled: 1-line block ×3, first 2 shown]
	v_mul_f64_e32 v[14:15], s[18:19], v[211:212]
	v_fma_f64 v[8:9], v[205:206], s[30:31], v[8:9]
	v_add_f64_e32 v[4:5], v[4:5], v[6:7]
	v_fma_f64 v[6:7], v[191:192], s[10:11], v[10:11]
	v_fma_f64 v[10:11], v[191:192], s[10:11], -v[10:11]
	s_delay_alu instid0(VALU_DEP_4) | instskip(SKIP_1) | instid1(VALU_DEP_4)
	v_add_f64_e32 v[8:9], v[8:9], v[20:21]
	v_mul_f64_e32 v[20:21], s[22:23], v[211:212]
	v_add_f64_e32 v[6:7], v[6:7], v[22:23]
	v_fma_f64 v[22:23], v[227:228], s[36:37], v[14:15]
	v_add_f64_e32 v[10:11], v[10:11], v[12:13]
	v_fma_f64 v[12:13], v[227:228], s[28:29], v[14:15]
	v_fma_f64 v[14:15], v[219:220], s[16:17], -v[162:163]
	v_add_f64_e32 v[20:21], v[253:254], v[20:21]
	v_add_f64_e32 v[4:5], v[22:23], v[4:5]
	v_mul_f64_e32 v[22:23], s[28:29], v[229:230]
	v_add_f64_e32 v[8:9], v[12:13], v[8:9]
	s_delay_alu instid0(VALU_DEP_2) | instskip(SKIP_2) | instid1(VALU_DEP_3)
	v_fma_f64 v[148:149], v[199:200], s[18:19], v[22:23]
	v_fma_f64 v[12:13], v[199:200], s[18:19], -v[22:23]
	v_mul_f64_e32 v[22:23], s[22:23], v[199:200]
	v_add_f64_e32 v[6:7], v[148:149], v[6:7]
	v_mul_f64_e32 v[148:149], s[0:1], v[223:224]
	s_delay_alu instid0(VALU_DEP_4) | instskip(NEXT) | instid1(VALU_DEP_4)
	v_add_f64_e32 v[10:11], v[12:13], v[10:11]
	v_add_f64_e64 v[22:23], v[22:23], -v[245:246]
	v_mul_f64_e32 v[245:246], s[0:1], v[231:232]
	s_delay_alu instid0(VALU_DEP_4) | instskip(SKIP_2) | instid1(VALU_DEP_3)
	v_fma_f64 v[150:151], v[235:236], s[12:13], v[148:149]
	v_fma_f64 v[12:13], v[235:236], s[38:39], v[148:149]
	v_mul_f64_e32 v[148:149], s[16:17], v[223:224]
	v_add_f64_e32 v[4:5], v[150:151], v[4:5]
	v_mul_f64_e32 v[150:151], s[38:39], v[237:238]
	s_delay_alu instid0(VALU_DEP_4) | instskip(NEXT) | instid1(VALU_DEP_4)
	v_add_f64_e32 v[8:9], v[12:13], v[8:9]
	v_add_f64_e32 v[0:1], v[0:1], v[148:149]
	v_mul_f64_e32 v[148:149], s[16:17], v[215:216]
	s_delay_alu instid0(VALU_DEP_4) | instskip(SKIP_1) | instid1(VALU_DEP_3)
	v_fma_f64 v[12:13], v[215:216], s[0:1], -v[150:151]
	v_fma_f64 v[207:208], v[215:216], s[0:1], v[150:151]
	v_add_f64_e64 v[148:149], v[148:149], -v[249:250]
	s_delay_alu instid0(VALU_DEP_3) | instskip(SKIP_1) | instid1(VALU_DEP_4)
	v_add_f64_e32 v[12:13], v[12:13], v[10:11]
	v_fma_f64 v[10:11], v[239:240], s[20:21], v[160:161]
	v_add_f64_e32 v[207:208], v[207:208], v[6:7]
	v_fma_f64 v[6:7], v[239:240], s[34:35], v[160:161]
	v_mul_f64_e32 v[160:161], s[10:11], v[223:224]
	s_delay_alu instid0(VALU_DEP_4)
	v_add_f64_e32 v[10:11], v[10:11], v[8:9]
	v_add_f64_e32 v[8:9], v[14:15], v[12:13]
	v_mul_f64_e32 v[12:13], s[18:19], v[195:196]
	v_mul_f64_e32 v[14:15], s[18:19], v[191:192]
	v_add_f64_e32 v[6:7], v[6:7], v[4:5]
	v_fma_f64 v[4:5], v[219:220], s[16:17], v[162:163]
	v_mul_f64_e32 v[162:163], s[14:15], v[237:238]
	v_add_f64_e32 v[12:13], v[247:248], v[12:13]
	v_add_f64_e64 v[14:15], v[14:15], -v[243:244]
	v_mul_f64_e32 v[243:244], s[28:29], v[241:242]
	v_add_f64_e32 v[4:5], v[4:5], v[207:208]
	v_mul_f64_e32 v[207:208], s[18:19], v[231:232]
	v_mul_f64_e32 v[241:242], s[38:39], v[241:242]
	v_add_f64_e32 v[12:13], v[12:13], v[18:19]
	v_add_f64_e32 v[14:15], v[14:15], v[16:17]
	v_mul_f64_e32 v[16:17], s[10:11], v[231:232]
	s_delay_alu instid0(VALU_DEP_3) | instskip(NEXT) | instid1(VALU_DEP_3)
	v_add_f64_e32 v[12:13], v[20:21], v[12:13]
	v_add_f64_e32 v[14:15], v[22:23], v[14:15]
	s_delay_alu instid0(VALU_DEP_3)
	v_add_f64_e32 v[2:3], v[2:3], v[16:17]
	v_mul_f64_e32 v[16:17], s[10:11], v[219:220]
	v_mul_f64_e32 v[20:21], s[22:23], v[195:196]
	;; [unrolled: 1-line block ×3, first 2 shown]
	v_add_f64_e32 v[0:1], v[0:1], v[12:13]
	v_add_f64_e32 v[12:13], v[148:149], v[14:15]
	v_mul_f64_e32 v[148:149], s[16:17], v[195:196]
	v_add_f64_e64 v[16:17], v[16:17], -v[251:252]
	v_fma_f64 v[14:15], v[191:192], s[22:23], -v[22:23]
	v_fma_f64 v[22:23], v[191:192], s[22:23], v[22:23]
	v_add_f64_e32 v[2:3], v[2:3], v[0:1]
	s_delay_alu instid0(VALU_DEP_4)
	v_add_f64_e32 v[0:1], v[16:17], v[12:13]
	v_fma_f64 v[12:13], v[205:206], s[26:27], v[20:21]
	v_add_f64_e32 v[14:15], v[14:15], v[32:33]
	v_mul_f64_e32 v[32:33], s[38:39], v[229:230]
	v_fma_f64 v[20:21], v[205:206], s[24:25], v[20:21]
	v_add_f64_e32 v[22:23], v[22:23], v[197:198]
	v_add_f64_e32 v[12:13], v[12:13], v[30:31]
	v_mul_f64_e32 v[30:31], s[0:1], v[211:212]
	s_delay_alu instid0(VALU_DEP_4) | instskip(NEXT) | instid1(VALU_DEP_2)
	v_add_f64_e32 v[20:21], v[20:21], v[193:194]
	v_fma_f64 v[16:17], v[227:228], s[38:39], v[30:31]
	s_delay_alu instid0(VALU_DEP_1) | instskip(SKIP_1) | instid1(VALU_DEP_1)
	v_add_f64_e32 v[12:13], v[16:17], v[12:13]
	v_fma_f64 v[16:17], v[199:200], s[0:1], -v[32:33]
	v_add_f64_e32 v[14:15], v[16:17], v[14:15]
	v_fma_f64 v[16:17], v[235:236], s[14:15], v[160:161]
	s_delay_alu instid0(VALU_DEP_1) | instskip(SKIP_1) | instid1(VALU_DEP_1)
	v_add_f64_e32 v[12:13], v[16:17], v[12:13]
	v_fma_f64 v[16:17], v[215:216], s[10:11], -v[162:163]
	;; [unrolled: 5-line block ×3, first 2 shown]
	v_add_f64_e32 v[12:13], v[12:13], v[16:17]
	v_fma_f64 v[16:17], v[205:206], s[34:35], v[148:149]
	v_fma_f64 v[148:149], v[205:206], s[20:21], v[148:149]
	s_delay_alu instid0(VALU_DEP_2) | instskip(SKIP_1) | instid1(VALU_DEP_3)
	v_add_f64_e32 v[16:17], v[16:17], v[24:25]
	v_mul_f64_e32 v[24:25], s[34:35], v[203:204]
	v_add_f64_e32 v[26:27], v[148:149], v[26:27]
	s_delay_alu instid0(VALU_DEP_2) | instskip(SKIP_1) | instid1(VALU_DEP_2)
	v_fma_f64 v[18:19], v[191:192], s[16:17], -v[24:25]
	v_fma_f64 v[24:25], v[191:192], s[16:17], v[24:25]
	v_add_f64_e32 v[18:19], v[18:19], v[34:35]
	v_mul_f64_e32 v[34:35], s[10:11], v[211:212]
	s_delay_alu instid0(VALU_DEP_3) | instskip(NEXT) | instid1(VALU_DEP_2)
	v_add_f64_e32 v[24:25], v[24:25], v[28:29]
	v_fma_f64 v[150:151], v[227:228], s[14:15], v[34:35]
	v_fma_f64 v[28:29], v[227:228], s[30:31], v[34:35]
	;; [unrolled: 1-line block ×3, first 2 shown]
	s_delay_alu instid0(VALU_DEP_3) | instskip(SKIP_1) | instid1(VALU_DEP_4)
	v_add_f64_e32 v[16:17], v[150:151], v[16:17]
	v_mul_f64_e32 v[150:151], s[14:15], v[229:230]
	v_add_f64_e32 v[26:27], v[28:29], v[26:27]
	s_delay_alu instid0(VALU_DEP_2) | instskip(SKIP_1) | instid1(VALU_DEP_2)
	v_fma_f64 v[203:204], v[199:200], s[10:11], -v[150:151]
	v_fma_f64 v[28:29], v[199:200], s[10:11], v[150:151]
	v_add_f64_e32 v[18:19], v[203:204], v[18:19]
	v_mul_f64_e32 v[203:204], s[22:23], v[223:224]
	s_delay_alu instid0(VALU_DEP_3) | instskip(NEXT) | instid1(VALU_DEP_2)
	v_add_f64_e32 v[24:25], v[28:29], v[24:25]
	v_fma_f64 v[229:230], v[235:236], s[24:25], v[203:204]
	v_fma_f64 v[28:29], v[235:236], s[26:27], v[203:204]
	s_delay_alu instid0(VALU_DEP_2) | instskip(SKIP_1) | instid1(VALU_DEP_3)
	v_add_f64_e32 v[16:17], v[229:230], v[16:17]
	v_mul_f64_e32 v[229:230], s[24:25], v[237:238]
	v_add_f64_e32 v[26:27], v[28:29], v[26:27]
	s_delay_alu instid0(VALU_DEP_2) | instskip(SKIP_1) | instid1(VALU_DEP_2)
	v_fma_f64 v[28:29], v[215:216], s[22:23], v[229:230]
	v_fma_f64 v[237:238], v[215:216], s[22:23], -v[229:230]
	v_add_f64_e32 v[24:25], v[28:29], v[24:25]
	v_fma_f64 v[28:29], v[239:240], s[12:13], v[245:246]
	s_delay_alu instid0(VALU_DEP_3) | instskip(SKIP_1) | instid1(VALU_DEP_4)
	v_add_f64_e32 v[237:238], v[237:238], v[18:19]
	v_fma_f64 v[18:19], v[239:240], s[38:39], v[245:246]
	v_add_f64_e32 v[148:149], v[34:35], v[24:25]
	v_fma_f64 v[24:25], v[227:228], s[12:13], v[30:31]
	;; [unrolled: 2-line block ×3, first 2 shown]
	v_fma_f64 v[28:29], v[239:240], s[36:37], v[207:208]
	v_mul_f64_e32 v[30:31], s[18:19], v[215:216]
	v_add_f64_e32 v[18:19], v[18:19], v[16:17]
	v_fma_f64 v[16:17], v[219:220], s[0:1], -v[241:242]
	v_add_f64_e32 v[20:21], v[24:25], v[20:21]
	v_fma_f64 v[24:25], v[199:200], s[0:1], v[32:33]
	v_mul_f64_e32 v[32:33], s[22:23], v[231:232]
	v_add_f64_e64 v[30:31], v[30:31], -v[217:218]
	v_add_f64_e32 v[16:17], v[16:17], v[237:238]
	v_add_f64_e32 v[20:21], v[26:27], v[20:21]
	;; [unrolled: 1-line block ×3, first 2 shown]
	v_fma_f64 v[24:25], v[215:216], s[10:11], v[162:163]
	v_mul_f64_e32 v[26:27], s[16:17], v[199:200]
	v_add_f64_e32 v[32:33], v[233:234], v[32:33]
	v_add_f64_e32 v[205:206], v[28:29], v[20:21]
	scratch_load_b64 v[28:29], off, off offset:232 th:TH_LOAD_LU ; 8-byte Folded Reload
	v_add_f64_e32 v[22:23], v[24:25], v[22:23]
	v_fma_f64 v[24:25], v[219:220], s[18:19], v[243:244]
	v_mul_f64_e32 v[20:21], s[0:1], v[195:196]
	s_delay_alu instid0(VALU_DEP_2)
	v_add_f64_e32 v[203:204], v[24:25], v[22:23]
	s_clause 0x1
	scratch_load_b64 v[22:23], off, off offset:224 th:TH_LOAD_LU
	scratch_load_b64 v[24:25], off, off offset:216 th:TH_LOAD_LU
	s_wait_loadcnt 0x2
	v_add_f64_e64 v[26:27], v[26:27], -v[28:29]
	v_mul_f64_e32 v[28:29], s[18:19], v[223:224]
	s_delay_alu instid0(VALU_DEP_1) | instskip(SKIP_3) | instid1(VALU_DEP_2)
	v_add_f64_e32 v[28:29], v[225:226], v[28:29]
	s_wait_loadcnt 0x1
	v_add_f64_e32 v[20:21], v[22:23], v[20:21]
	v_mul_f64_e32 v[22:23], s[0:1], v[191:192]
	v_add_f64_e32 v[20:21], v[20:21], v[201:202]
	s_wait_loadcnt 0x0
	s_delay_alu instid0(VALU_DEP_2) | instskip(SKIP_1) | instid1(VALU_DEP_2)
	v_add_f64_e64 v[22:23], v[22:23], -v[24:25]
	v_mul_f64_e32 v[24:25], s[16:17], v[211:212]
	v_add_f64_e32 v[22:23], v[22:23], v[158:159]
	s_delay_alu instid0(VALU_DEP_2) | instskip(NEXT) | instid1(VALU_DEP_2)
	v_add_f64_e32 v[24:25], v[213:214], v[24:25]
	v_add_f64_e32 v[22:23], v[26:27], v[22:23]
	s_delay_alu instid0(VALU_DEP_2) | instskip(SKIP_1) | instid1(VALU_DEP_3)
	v_add_f64_e32 v[20:21], v[24:25], v[20:21]
	v_mul_f64_e32 v[24:25], s[22:23], v[219:220]
	v_add_f64_e32 v[22:23], v[30:31], v[22:23]
	s_delay_alu instid0(VALU_DEP_3) | instskip(NEXT) | instid1(VALU_DEP_3)
	v_add_f64_e32 v[20:21], v[28:29], v[20:21]
	v_add_f64_e64 v[24:25], v[24:25], -v[221:222]
	s_delay_alu instid0(VALU_DEP_2) | instskip(NEXT) | instid1(VALU_DEP_2)
	v_add_f64_e32 v[193:194], v[32:33], v[20:21]
	v_add_f64_e32 v[191:192], v[24:25], v[22:23]
	scratch_load_b64 v[24:25], off, off offset:200 th:TH_LOAD_LU ; 8-byte Folded Reload
	v_add_f64_e32 v[20:21], v[209:210], v[168:169]
	scratch_load_b64 v[22:23], off, off offset:208 th:TH_LOAD_LU ; 8-byte Folded Reload
	v_add_f64_e32 v[20:21], v[20:21], v[172:173]
	s_delay_alu instid0(VALU_DEP_1) | instskip(NEXT) | instid1(VALU_DEP_1)
	v_add_f64_e32 v[20:21], v[20:21], v[180:181]
	v_add_f64_e32 v[20:21], v[20:21], v[187:188]
	s_delay_alu instid0(VALU_DEP_1) | instskip(NEXT) | instid1(VALU_DEP_1)
	v_add_f64_e32 v[20:21], v[20:21], v[189:190]
	v_add_f64_e32 v[20:21], v[20:21], v[178:179]
	s_delay_alu instid0(VALU_DEP_1) | instskip(SKIP_1) | instid1(VALU_DEP_1)
	v_add_f64_e32 v[20:21], v[20:21], v[174:175]
	s_wait_loadcnt 0x1
	v_add_f64_e32 v[20:21], v[20:21], v[24:25]
	scratch_load_b64 v[24:25], off, off offset:184 th:TH_LOAD_LU ; 8-byte Folded Reload
	s_wait_loadcnt 0x1
	v_add_f64_e32 v[22:23], v[22:23], v[166:167]
	s_delay_alu instid0(VALU_DEP_1) | instskip(NEXT) | instid1(VALU_DEP_1)
	v_add_f64_e32 v[22:23], v[22:23], v[170:171]
	v_add_f64_e32 v[22:23], v[22:23], v[176:177]
	s_delay_alu instid0(VALU_DEP_1) | instskip(NEXT) | instid1(VALU_DEP_1)
	v_add_f64_e32 v[22:23], v[22:23], v[182:183]
	;; [unrolled: 3-line block ×3, first 2 shown]
	v_add_f64_e32 v[22:23], v[22:23], v[152:153]
	s_delay_alu instid0(VALU_DEP_1)
	v_add_f64_e32 v[22:23], v[22:23], v[164:165]
	s_wait_loadcnt 0x0
	v_add_f64_e32 v[154:155], v[20:21], v[24:25]
	scratch_load_b64 v[20:21], off, off offset:192 th:TH_LOAD_LU ; 8-byte Folded Reload
	s_wait_loadcnt 0x0
	v_add_f64_e32 v[152:153], v[22:23], v[20:21]
	ds_store_b128 v184, v[0:3] offset:3168
	ds_store_b128 v184, v[12:15] offset:4752
	;; [unrolled: 1-line block ×9, first 2 shown]
	ds_store_b128 v184, v[152:155]
	ds_store_b128 v184, v[144:147] offset:15840
.LBB0_9:
	s_or_b32 exec_lo, exec_lo, s33
	v_lshlrev_b32_e32 v20, 4, v255
	s_add_nc_u64 s[0:1], s[8:9], 0x4410
	global_wb scope:SCOPE_SE
	s_wait_storecnt_dscnt 0x0
	s_barrier_signal -1
	s_barrier_wait -1
	global_inv scope:SCOPE_SE
	s_clause 0x8
	global_load_b128 v[0:3], v[156:157], off offset:17424
	global_load_b128 v[4:7], v20, s[0:1] offset:5808
	global_load_b128 v[8:11], v20, s[0:1] offset:11616
	;; [unrolled: 1-line block ×8, first 2 shown]
	ds_load_b128 v[164:167], v184
	ds_load_b128 v[168:171], v184 offset:5808
	ds_load_b128 v[172:175], v184 offset:11616
	;; [unrolled: 1-line block ×8, first 2 shown]
	s_mov_b32 s0, 0xe8584caa
	s_mov_b32 s1, 0xbfebb67a
	s_mov_b32 s9, 0x3febb67a
	s_wait_alu 0xfffe
	s_mov_b32 s8, s0
	s_wait_loadcnt_dscnt 0x808
	v_mul_f64_e32 v[20:21], v[166:167], v[2:3]
	v_mul_f64_e32 v[2:3], v[164:165], v[2:3]
	s_wait_loadcnt_dscnt 0x707
	v_mul_f64_e32 v[22:23], v[170:171], v[6:7]
	v_mul_f64_e32 v[6:7], v[168:169], v[6:7]
	;; [unrolled: 3-line block ×9, first 2 shown]
	v_fma_f64 v[162:163], v[164:165], v[0:1], -v[20:21]
	v_fma_f64 v[164:165], v[166:167], v[0:1], v[2:3]
	v_fma_f64 v[0:1], v[168:169], v[4:5], -v[22:23]
	v_fma_f64 v[2:3], v[170:171], v[4:5], v[6:7]
	;; [unrolled: 2-line block ×9, first 2 shown]
	ds_store_b128 v184, v[162:165]
	ds_store_b128 v184, v[8:11] offset:1936
	ds_store_b128 v184, v[4:7] offset:11616
	;; [unrolled: 1-line block ×8, first 2 shown]
	global_wb scope:SCOPE_SE
	s_wait_dscnt 0x0
	s_barrier_signal -1
	s_barrier_wait -1
	global_inv scope:SCOPE_SE
	ds_load_b128 v[0:3], v184 offset:5808
	ds_load_b128 v[4:7], v184 offset:11616
	;; [unrolled: 1-line block ×7, first 2 shown]
	ds_load_b128 v[156:159], v184
	ds_load_b128 v[160:163], v184 offset:1936
	global_wb scope:SCOPE_SE
	s_wait_dscnt 0x0
	s_barrier_signal -1
	s_barrier_wait -1
	global_inv scope:SCOPE_SE
	v_add_f64_e32 v[22:23], v[2:3], v[6:7]
	v_add_f64_e32 v[20:21], v[0:1], v[4:5]
	v_add_f64_e64 v[34:35], v[2:3], -v[6:7]
	v_add_f64_e32 v[24:25], v[12:13], v[8:9]
	v_add_f64_e32 v[30:31], v[18:19], v[154:155]
	;; [unrolled: 1-line block ×4, first 2 shown]
	v_add_f64_e64 v[0:1], v[0:1], -v[4:5]
	v_add_f64_e64 v[18:19], v[18:19], -v[154:155]
	v_add_f64_e32 v[28:29], v[16:17], v[152:153]
	v_add_f64_e32 v[2:3], v[158:159], v[2:3]
	;; [unrolled: 1-line block ×3, first 2 shown]
	v_add_f64_e64 v[16:17], v[16:17], -v[152:153]
	v_add_f64_e32 v[26:27], v[14:15], v[10:11]
	v_add_f64_e32 v[164:165], v[160:161], v[12:13]
	;; [unrolled: 1-line block ×3, first 2 shown]
	v_add_f64_e64 v[14:15], v[14:15], -v[10:11]
	v_add_f64_e64 v[12:13], v[12:13], -v[8:9]
	v_fma_f64 v[22:23], v[22:23], -0.5, v[158:159]
	v_fma_f64 v[20:21], v[20:21], -0.5, v[156:157]
	;; [unrolled: 1-line block ×4, first 2 shown]
	v_add_f64_e32 v[154:155], v[174:175], v[154:155]
	v_fma_f64 v[28:29], v[28:29], -0.5, v[148:149]
	v_add_f64_e32 v[148:149], v[32:33], v[4:5]
	v_add_f64_e32 v[150:151], v[2:3], v[6:7]
	;; [unrolled: 1-line block ×3, first 2 shown]
	v_fma_f64 v[26:27], v[26:27], -0.5, v[162:163]
	v_add_f64_e32 v[168:169], v[164:165], v[8:9]
	v_add_f64_e32 v[170:171], v[166:167], v[10:11]
	s_wait_alu 0xfffe
	v_fma_f64 v[178:179], v[0:1], s[8:9], v[22:23]
	v_fma_f64 v[174:175], v[0:1], s[0:1], v[22:23]
	scratch_load_b32 v0, off, off offset:168 th:TH_LOAD_LU ; 4-byte Folded Reload
	v_fma_f64 v[176:177], v[34:35], s[0:1], v[20:21]
	v_fma_f64 v[172:173], v[34:35], s[8:9], v[20:21]
	;; [unrolled: 1-line block ×8, first 2 shown]
	s_wait_loadcnt 0x0
	ds_store_b128 v0, v[148:151]
	ds_store_b128 v0, v[176:179] offset:16
	ds_store_b128 v0, v[172:175] offset:32
	scratch_load_b32 v0, off, off offset:164 th:TH_LOAD_LU ; 4-byte Folded Reload
	v_fma_f64 v[162:163], v[12:13], s[8:9], v[26:27]
	v_fma_f64 v[158:159], v[12:13], s[0:1], v[26:27]
	s_wait_loadcnt 0x0
	ds_store_b128 v0, v[168:171]
	ds_store_b128 v0, v[160:163] offset:16
	ds_store_b128 v0, v[156:159] offset:32
	scratch_load_b32 v0, off, off offset:160 th:TH_LOAD_LU ; 4-byte Folded Reload
	s_wait_loadcnt 0x0
	ds_store_b128 v0, v[152:155]
	ds_store_b128 v0, v[164:167] offset:16
	ds_store_b128 v0, v[180:183] offset:32
	global_wb scope:SCOPE_SE
	s_wait_dscnt 0x0
	s_barrier_signal -1
	s_barrier_wait -1
	global_inv scope:SCOPE_SE
	s_and_saveexec_b32 s0, vcc_lo
	s_cbranch_execz .LBB0_11
; %bb.10:
	ds_load_b128 v[148:151], v184
	ds_load_b128 v[176:179], v184 offset:1584
	ds_load_b128 v[172:175], v184 offset:3168
	;; [unrolled: 1-line block ×10, first 2 shown]
.LBB0_11:
	s_wait_alu 0xfffe
	s_or_b32 exec_lo, exec_lo, s0
	s_wait_dscnt 0x9
	v_mul_f64_e32 v[0:1], v[54:55], v[176:177]
	s_mov_b32 s16, 0xf8bb580b
	s_mov_b32 s17, 0xbfe14ced
	;; [unrolled: 1-line block ×16, first 2 shown]
	s_wait_alu 0xfffe
	s_mov_b32 s28, s14
	s_mov_b32 s30, s16
	global_wb scope:SCOPE_SE
	s_wait_dscnt 0x0
	s_barrier_signal -1
	s_barrier_wait -1
	global_inv scope:SCOPE_SE
	v_fma_f64 v[185:186], v[52:53], v[178:179], -v[0:1]
	v_mul_f64_e32 v[0:1], v[54:55], v[178:179]
	s_delay_alu instid0(VALU_DEP_1) | instskip(SKIP_1) | instid1(VALU_DEP_1)
	v_fma_f64 v[187:188], v[52:53], v[176:177], v[0:1]
	v_mul_f64_e32 v[0:1], v[78:79], v[144:145]
	v_fma_f64 v[52:53], v[76:77], v[146:147], -v[0:1]
	v_mul_f64_e32 v[0:1], v[78:79], v[146:147]
	s_delay_alu instid0(VALU_DEP_2) | instskip(NEXT) | instid1(VALU_DEP_2)
	v_add_f64_e64 v[8:9], v[185:186], -v[52:53]
	v_fma_f64 v[54:55], v[76:77], v[144:145], v[0:1]
	v_mul_f64_e32 v[0:1], v[66:67], v[172:173]
	v_add_f64_e32 v[12:13], v[185:186], v[52:53]
	s_delay_alu instid0(VALU_DEP_4) | instskip(NEXT) | instid1(VALU_DEP_4)
	v_mul_f64_e32 v[4:5], s[16:17], v[8:9]
	v_add_f64_e32 v[6:7], v[187:188], v[54:55]
	s_delay_alu instid0(VALU_DEP_4) | instskip(SKIP_4) | instid1(VALU_DEP_4)
	v_fma_f64 v[76:77], v[64:65], v[174:175], -v[0:1]
	v_mul_f64_e32 v[0:1], v[66:67], v[174:175]
	v_add_f64_e64 v[14:15], v[187:188], -v[54:55]
	v_mul_f64_e32 v[10:11], s[8:9], v[12:13]
	v_mul_f64_e32 v[18:19], s[0:1], v[12:13]
	v_fma_f64 v[78:79], v[64:65], v[172:173], v[0:1]
	v_mul_f64_e32 v[0:1], v[70:71], v[140:141]
	s_delay_alu instid0(VALU_DEP_1) | instskip(SKIP_1) | instid1(VALU_DEP_1)
	v_fma_f64 v[64:65], v[68:69], v[142:143], -v[0:1]
	v_mul_f64_e32 v[0:1], v[70:71], v[142:143]
	v_fma_f64 v[66:67], v[68:69], v[140:141], v[0:1]
	v_mul_f64_e32 v[0:1], v[62:63], v[168:169]
	s_delay_alu instid0(VALU_DEP_2) | instskip(NEXT) | instid1(VALU_DEP_2)
	v_add_f64_e32 v[144:145], v[78:79], v[66:67]
	v_fma_f64 v[68:69], v[60:61], v[170:171], -v[0:1]
	v_mul_f64_e32 v[0:1], v[62:63], v[170:171]
	s_delay_alu instid0(VALU_DEP_1) | instskip(SKIP_1) | instid1(VALU_DEP_1)
	v_fma_f64 v[62:63], v[60:61], v[168:169], v[0:1]
	v_mul_f64_e32 v[0:1], v[58:59], v[180:181]
	v_fma_f64 v[60:61], v[56:57], v[182:183], -v[0:1]
	v_mul_f64_e32 v[0:1], v[58:59], v[182:183]
	v_add_f64_e64 v[182:183], v[78:79], -v[66:67]
	s_delay_alu instid0(VALU_DEP_3) | instskip(NEXT) | instid1(VALU_DEP_3)
	v_add_f64_e32 v[174:175], v[68:69], v[60:61]
	v_fma_f64 v[56:57], v[56:57], v[180:181], v[0:1]
	v_mul_f64_e32 v[0:1], v[50:51], v[160:161]
	v_add_f64_e64 v[180:181], v[68:69], -v[60:61]
	s_delay_alu instid0(VALU_DEP_2) | instskip(SKIP_2) | instid1(VALU_DEP_4)
	v_fma_f64 v[58:59], v[48:49], v[162:163], -v[0:1]
	v_mul_f64_e32 v[0:1], v[50:51], v[162:163]
	v_add_f64_e64 v[162:163], v[62:63], -v[56:57]
	v_mul_f64_e32 v[203:204], s[26:27], v[180:181]
	s_delay_alu instid0(VALU_DEP_3) | instskip(SKIP_2) | instid1(VALU_DEP_2)
	v_fma_f64 v[50:51], v[48:49], v[160:161], v[0:1]
	v_mul_f64_e32 v[0:1], v[46:47], v[164:165]
	v_add_f64_e64 v[160:161], v[76:77], -v[64:65]
	v_fma_f64 v[48:49], v[44:45], v[166:167], -v[0:1]
	v_mul_f64_e32 v[0:1], v[46:47], v[166:167]
	s_delay_alu instid0(VALU_DEP_3) | instskip(SKIP_1) | instid1(VALU_DEP_4)
	v_mul_f64_e32 v[146:147], s[10:11], v[160:161]
	v_mul_f64_e32 v[201:202], s[20:21], v[160:161]
	v_add_f64_e64 v[195:196], v[58:59], -v[48:49]
	s_delay_alu instid0(VALU_DEP_4)
	v_fma_f64 v[44:45], v[44:45], v[164:165], v[0:1]
	v_mul_f64_e32 v[0:1], v[42:43], v[156:157]
	v_fma_f64 v[2:3], v[144:145], s[0:1], -v[146:147]
	v_mul_f64_e32 v[164:165], s[12:13], v[174:175]
	v_add_f64_e32 v[193:194], v[58:59], v[48:49]
	v_mul_f64_e32 v[168:169], s[20:21], v[195:196]
	v_add_f64_e32 v[166:167], v[50:51], v[44:45]
	v_fma_f64 v[46:47], v[40:41], v[158:159], -v[0:1]
	v_mul_f64_e32 v[0:1], v[42:43], v[158:159]
	v_add_f64_e32 v[158:159], v[76:77], v[64:65]
	v_add_f64_e64 v[176:177], v[50:51], -v[44:45]
	v_mul_f64_e32 v[178:179], s[18:19], v[193:194]
	s_wait_alu 0xfffe
	v_mul_f64_e32 v[207:208], s[28:29], v[195:196]
	v_fma_f64 v[70:71], v[40:41], v[156:157], v[0:1]
	v_mul_f64_e32 v[0:1], v[38:39], v[152:153]
	v_mul_f64_e32 v[156:157], s[14:15], v[180:181]
	;; [unrolled: 1-line block ×3, first 2 shown]
	s_delay_alu instid0(VALU_DEP_3) | instskip(SKIP_2) | instid1(VALU_DEP_4)
	v_fma_f64 v[140:141], v[36:37], v[154:155], -v[0:1]
	v_mul_f64_e32 v[0:1], v[38:39], v[154:155]
	v_add_f64_e32 v[154:155], v[62:63], v[56:57]
	v_fma_f64 v[20:21], v[182:183], s[20:21], v[205:206]
	s_delay_alu instid0(VALU_DEP_4) | instskip(NEXT) | instid1(VALU_DEP_4)
	v_add_f64_e64 v[199:200], v[46:47], -v[140:141]
	v_fma_f64 v[142:143], v[36:37], v[152:153], v[0:1]
	v_fma_f64 v[0:1], v[6:7], s[8:9], -v[4:5]
	v_mul_f64_e32 v[152:153], s[0:1], v[158:159]
	v_add_f64_e32 v[197:198], v[46:47], v[140:141]
	v_mul_f64_e32 v[172:173], s[24:25], v[199:200]
	v_add_f64_e32 v[170:171], v[70:71], v[142:143]
	v_add_f64_e32 v[0:1], v[148:149], v[0:1]
	v_fma_f64 v[16:17], v[182:183], s[10:11], v[152:153]
	v_add_f64_e64 v[189:190], v[70:71], -v[142:143]
	v_mul_f64_e32 v[191:192], s[22:23], v[197:198]
	v_mul_f64_e32 v[209:210], s[30:31], v[199:200]
	;; [unrolled: 1-line block ×3, first 2 shown]
	v_add_f64_e32 v[0:1], v[2:3], v[0:1]
	v_fma_f64 v[2:3], v[14:15], s[16:17], v[10:11]
	s_delay_alu instid0(VALU_DEP_1) | instskip(NEXT) | instid1(VALU_DEP_1)
	v_add_f64_e32 v[2:3], v[150:151], v[2:3]
	v_add_f64_e32 v[2:3], v[16:17], v[2:3]
	v_fma_f64 v[16:17], v[154:155], s[12:13], -v[156:157]
	s_delay_alu instid0(VALU_DEP_1) | instskip(SKIP_1) | instid1(VALU_DEP_1)
	v_add_f64_e32 v[0:1], v[16:17], v[0:1]
	v_fma_f64 v[16:17], v[162:163], s[14:15], v[164:165]
	v_add_f64_e32 v[2:3], v[16:17], v[2:3]
	v_fma_f64 v[16:17], v[166:167], s[18:19], -v[168:169]
	s_delay_alu instid0(VALU_DEP_1) | instskip(SKIP_1) | instid1(VALU_DEP_1)
	v_add_f64_e32 v[0:1], v[16:17], v[0:1]
	v_fma_f64 v[16:17], v[176:177], s[20:21], v[178:179]
	v_add_f64_e32 v[2:3], v[16:17], v[2:3]
	v_fma_f64 v[16:17], v[170:171], s[22:23], -v[172:173]
	s_delay_alu instid0(VALU_DEP_1) | instskip(SKIP_2) | instid1(VALU_DEP_2)
	v_add_f64_e32 v[36:37], v[16:17], v[0:1]
	v_fma_f64 v[0:1], v[189:190], s[24:25], v[191:192]
	v_mul_f64_e32 v[16:17], s[10:11], v[8:9]
	v_add_f64_e32 v[38:39], v[0:1], v[2:3]
	s_delay_alu instid0(VALU_DEP_2) | instskip(SKIP_1) | instid1(VALU_DEP_2)
	v_fma_f64 v[0:1], v[6:7], s[0:1], -v[16:17]
	v_fma_f64 v[2:3], v[144:145], s[18:19], -v[201:202]
	v_add_f64_e32 v[0:1], v[148:149], v[0:1]
	s_delay_alu instid0(VALU_DEP_1) | instskip(SKIP_1) | instid1(VALU_DEP_1)
	v_add_f64_e32 v[0:1], v[2:3], v[0:1]
	v_fma_f64 v[2:3], v[14:15], s[10:11], v[18:19]
	v_add_f64_e32 v[2:3], v[150:151], v[2:3]
	s_delay_alu instid0(VALU_DEP_1) | instskip(SKIP_1) | instid1(VALU_DEP_1)
	v_add_f64_e32 v[2:3], v[20:21], v[2:3]
	v_fma_f64 v[20:21], v[154:155], s[22:23], -v[203:204]
	v_add_f64_e32 v[20:21], v[20:21], v[0:1]
	v_mul_f64_e32 v[0:1], s[22:23], v[174:175]
	s_delay_alu instid0(VALU_DEP_1) | instskip(NEXT) | instid1(VALU_DEP_1)
	v_fma_f64 v[22:23], v[162:163], s[26:27], v[0:1]
	v_add_f64_e32 v[22:23], v[22:23], v[2:3]
	v_fma_f64 v[2:3], v[166:167], s[12:13], -v[207:208]
	s_delay_alu instid0(VALU_DEP_1) | instskip(SKIP_1) | instid1(VALU_DEP_1)
	v_add_f64_e32 v[20:21], v[2:3], v[20:21]
	v_mul_f64_e32 v[2:3], s[12:13], v[193:194]
	v_fma_f64 v[24:25], v[176:177], s[28:29], v[2:3]
	s_delay_alu instid0(VALU_DEP_1) | instskip(SKIP_1) | instid1(VALU_DEP_1)
	v_add_f64_e32 v[22:23], v[24:25], v[22:23]
	v_fma_f64 v[24:25], v[170:171], s[8:9], -v[209:210]
	v_add_f64_e32 v[40:41], v[24:25], v[20:21]
	v_fma_f64 v[20:21], v[189:190], s[30:31], v[211:212]
	s_delay_alu instid0(VALU_DEP_1)
	v_add_f64_e32 v[42:43], v[20:21], v[22:23]
	s_and_saveexec_b32 s33, vcc_lo
	s_cbranch_execz .LBB0_13
; %bb.12:
	v_mul_f64_e32 v[20:21], s[10:11], v[14:15]
	v_mul_f64_e32 v[24:25], s[20:21], v[14:15]
	;; [unrolled: 1-line block ×3, first 2 shown]
	v_add_f64_e32 v[187:188], v[148:149], v[187:188]
	v_mul_f64_e32 v[221:222], s[10:11], v[182:183]
	s_mov_b32 s11, 0x3fed1bb4
	v_add_f64_e32 v[185:186], v[150:151], v[185:186]
	v_mul_f64_e32 v[225:226], s[14:15], v[189:190]
	v_mul_f64_e32 v[227:228], s[14:15], v[199:200]
	v_add_f64_e64 v[18:19], v[18:19], -v[20:21]
	v_mul_f64_e32 v[20:21], s[0:1], v[6:7]
	v_fma_f64 v[26:27], v[12:13], s[18:19], v[24:25]
	v_fma_f64 v[24:25], v[12:13], s[18:19], -v[24:25]
	v_fma_f64 v[30:31], v[12:13], s[12:13], -v[28:29]
	v_add_f64_e32 v[18:19], v[150:151], v[18:19]
	v_add_f64_e32 v[16:17], v[20:21], v[16:17]
	v_mul_f64_e32 v[20:21], s[24:25], v[14:15]
	v_mul_f64_e32 v[14:15], s[16:17], v[14:15]
	v_add_f64_e32 v[26:27], v[150:151], v[26:27]
	v_add_f64_e32 v[24:25], v[150:151], v[24:25]
	;; [unrolled: 1-line block ×4, first 2 shown]
	v_fma_f64 v[22:23], v[12:13], s[22:23], v[20:21]
	v_fma_f64 v[20:21], v[12:13], s[22:23], -v[20:21]
	v_fma_f64 v[12:13], v[12:13], s[12:13], v[28:29]
	v_add_f64_e64 v[10:11], v[10:11], -v[14:15]
	v_mul_f64_e32 v[14:15], s[24:25], v[8:9]
	v_mul_f64_e32 v[28:29], s[20:21], v[8:9]
	;; [unrolled: 1-line block ×3, first 2 shown]
	v_add_f64_e32 v[20:21], v[150:151], v[20:21]
	v_add_f64_e32 v[217:218], v[150:151], v[10:11]
	v_fma_f64 v[32:33], v[6:7], s[22:23], -v[14:15]
	v_fma_f64 v[14:15], v[6:7], s[22:23], v[14:15]
	v_fma_f64 v[34:35], v[6:7], s[18:19], v[28:29]
	v_fma_f64 v[28:29], v[6:7], s[18:19], -v[28:29]
	v_fma_f64 v[213:214], v[6:7], s[12:13], v[8:9]
	v_fma_f64 v[8:9], v[6:7], s[12:13], -v[8:9]
	v_mul_f64_e32 v[6:7], s[8:9], v[6:7]
	v_mul_f64_e32 v[10:11], s[30:31], v[160:161]
	v_add_f64_e32 v[14:15], v[148:149], v[14:15]
	v_add_f64_e32 v[34:35], v[148:149], v[34:35]
	;; [unrolled: 1-line block ×5, first 2 shown]
	v_mul_f64_e32 v[8:9], s[30:31], v[182:183]
	v_add_f64_e32 v[6:7], v[150:151], v[22:23]
	v_add_f64_e32 v[22:23], v[148:149], v[32:33]
	;; [unrolled: 1-line block ×4, first 2 shown]
	v_mul_f64_e32 v[12:13], s[20:21], v[162:163]
	v_add_f64_e32 v[219:220], v[148:149], v[4:5]
	v_fma_f64 v[4:5], v[158:159], s[8:9], v[8:9]
	v_fma_f64 v[8:9], v[158:159], s[8:9], -v[8:9]
	s_delay_alu instid0(VALU_DEP_2) | instskip(SKIP_1) | instid1(VALU_DEP_3)
	v_add_f64_e32 v[4:5], v[4:5], v[6:7]
	v_fma_f64 v[6:7], v[144:145], s[8:9], -v[10:11]
	v_add_f64_e32 v[8:9], v[8:9], v[20:21]
	v_fma_f64 v[10:11], v[144:145], s[8:9], v[10:11]
	v_mul_f64_e32 v[20:21], s[26:27], v[162:163]
	s_delay_alu instid0(VALU_DEP_4)
	v_add_f64_e32 v[6:7], v[6:7], v[22:23]
	v_fma_f64 v[22:23], v[174:175], s[18:19], v[12:13]
	v_fma_f64 v[12:13], v[174:175], s[18:19], -v[12:13]
	v_add_f64_e32 v[10:11], v[10:11], v[14:15]
	v_fma_f64 v[14:15], v[170:171], s[12:13], v[227:228]
	v_add_f64_e64 v[0:1], v[0:1], -v[20:21]
	v_mul_f64_e32 v[20:21], s[22:23], v[154:155]
	v_add_f64_e32 v[4:5], v[22:23], v[4:5]
	v_mul_f64_e32 v[22:23], s[20:21], v[180:181]
	v_add_f64_e32 v[8:9], v[12:13], v[8:9]
	s_delay_alu instid0(VALU_DEP_4) | instskip(SKIP_1) | instid1(VALU_DEP_4)
	v_add_f64_e32 v[20:21], v[20:21], v[203:204]
	v_mul_f64_e32 v[203:204], s[16:17], v[195:196]
	v_fma_f64 v[148:149], v[154:155], s[18:19], -v[22:23]
	v_fma_f64 v[12:13], v[154:155], s[18:19], v[22:23]
	v_mul_f64_e32 v[22:23], s[28:29], v[176:177]
	s_delay_alu instid0(VALU_DEP_3) | instskip(SKIP_2) | instid1(VALU_DEP_4)
	v_add_f64_e32 v[6:7], v[148:149], v[6:7]
	s_wait_alu 0xfffe
	v_mul_f64_e32 v[148:149], s[10:11], v[176:177]
	v_add_f64_e32 v[10:11], v[12:13], v[10:11]
	s_delay_alu instid0(VALU_DEP_4) | instskip(SKIP_1) | instid1(VALU_DEP_4)
	v_add_f64_e64 v[2:3], v[2:3], -v[22:23]
	v_mul_f64_e32 v[22:23], s[12:13], v[166:167]
	v_fma_f64 v[150:151], v[193:194], s[0:1], v[148:149]
	v_fma_f64 v[12:13], v[193:194], s[0:1], -v[148:149]
	v_mul_f64_e32 v[148:149], s[28:29], v[182:183]
	s_delay_alu instid0(VALU_DEP_4) | instskip(SKIP_4) | instid1(VALU_DEP_2)
	v_add_f64_e32 v[22:23], v[22:23], v[207:208]
	v_mul_f64_e32 v[207:208], s[20:21], v[199:200]
	v_add_f64_e32 v[4:5], v[150:151], v[4:5]
	v_mul_f64_e32 v[150:151], s[10:11], v[195:196]
	v_add_f64_e32 v[8:9], v[12:13], v[8:9]
	v_fma_f64 v[12:13], v[166:167], s[0:1], v[150:151]
	v_fma_f64 v[223:224], v[166:167], s[0:1], -v[150:151]
	s_delay_alu instid0(VALU_DEP_2) | instskip(SKIP_1) | instid1(VALU_DEP_3)
	v_add_f64_e32 v[12:13], v[12:13], v[10:11]
	v_fma_f64 v[10:11], v[197:198], s[12:13], -v[225:226]
	v_add_f64_e32 v[223:224], v[223:224], v[6:7]
	v_fma_f64 v[6:7], v[197:198], s[12:13], v[225:226]
	s_delay_alu instid0(VALU_DEP_3)
	v_add_f64_e32 v[10:11], v[10:11], v[8:9]
	v_add_f64_e32 v[8:9], v[14:15], v[12:13]
	v_mul_f64_e32 v[12:13], s[20:21], v[182:183]
	v_mul_f64_e32 v[14:15], s[18:19], v[144:145]
	v_add_f64_e32 v[6:7], v[6:7], v[4:5]
	v_fma_f64 v[4:5], v[170:171], s[12:13], -v[227:228]
	s_delay_alu instid0(VALU_DEP_4) | instskip(NEXT) | instid1(VALU_DEP_4)
	v_add_f64_e64 v[12:13], v[205:206], -v[12:13]
	v_add_f64_e32 v[14:15], v[14:15], v[201:202]
	v_mul_f64_e32 v[201:202], s[16:17], v[176:177]
	v_mul_f64_e32 v[205:206], s[20:21], v[189:190]
	v_add_f64_e32 v[4:5], v[4:5], v[223:224]
	v_add_f64_e32 v[12:13], v[12:13], v[18:19]
	;; [unrolled: 1-line block ×3, first 2 shown]
	v_mul_f64_e32 v[16:17], s[30:31], v[189:190]
	s_delay_alu instid0(VALU_DEP_3) | instskip(NEXT) | instid1(VALU_DEP_3)
	v_add_f64_e32 v[0:1], v[0:1], v[12:13]
	v_add_f64_e32 v[12:13], v[20:21], v[14:15]
	v_mul_f64_e32 v[14:15], s[8:9], v[170:171]
	s_delay_alu instid0(VALU_DEP_4)
	v_add_f64_e64 v[16:17], v[211:212], -v[16:17]
	v_mul_f64_e32 v[20:21], s[26:27], v[182:183]
	v_add_f64_e32 v[0:1], v[2:3], v[0:1]
	v_add_f64_e32 v[12:13], v[22:23], v[12:13]
	v_add_f64_e32 v[14:15], v[14:15], v[209:210]
	v_mul_f64_e32 v[22:23], s[26:27], v[160:161]
	s_delay_alu instid0(VALU_DEP_4) | instskip(NEXT) | instid1(VALU_DEP_3)
	v_add_f64_e32 v[2:3], v[16:17], v[0:1]
	v_add_f64_e32 v[0:1], v[14:15], v[12:13]
	v_fma_f64 v[12:13], v[158:159], s[22:23], -v[20:21]
	s_delay_alu instid0(VALU_DEP_4) | instskip(SKIP_2) | instid1(VALU_DEP_4)
	v_fma_f64 v[14:15], v[144:145], s[22:23], v[22:23]
	v_fma_f64 v[20:21], v[158:159], s[22:23], v[20:21]
	v_fma_f64 v[22:23], v[144:145], s[22:23], -v[22:23]
	v_add_f64_e32 v[12:13], v[12:13], v[30:31]
	v_mul_f64_e32 v[30:31], s[10:11], v[162:163]
	v_add_f64_e32 v[14:15], v[14:15], v[32:33]
	v_mul_f64_e32 v[32:33], s[10:11], v[180:181]
	v_add_f64_e32 v[20:21], v[20:21], v[213:214]
	v_add_f64_e32 v[22:23], v[22:23], v[215:216]
	v_fma_f64 v[16:17], v[174:175], s[0:1], -v[30:31]
	s_delay_alu instid0(VALU_DEP_1) | instskip(SKIP_1) | instid1(VALU_DEP_1)
	v_add_f64_e32 v[12:13], v[16:17], v[12:13]
	v_fma_f64 v[16:17], v[154:155], s[0:1], v[32:33]
	v_add_f64_e32 v[14:15], v[16:17], v[14:15]
	v_fma_f64 v[16:17], v[193:194], s[8:9], -v[201:202]
	s_delay_alu instid0(VALU_DEP_1) | instskip(SKIP_1) | instid1(VALU_DEP_1)
	v_add_f64_e32 v[12:13], v[16:17], v[12:13]
	v_fma_f64 v[16:17], v[166:167], s[8:9], v[203:204]
	v_add_f64_e32 v[16:17], v[16:17], v[14:15]
	v_fma_f64 v[14:15], v[197:198], s[18:19], -v[205:206]
	s_delay_alu instid0(VALU_DEP_1) | instskip(SKIP_1) | instid1(VALU_DEP_1)
	v_add_f64_e32 v[14:15], v[14:15], v[12:13]
	v_fma_f64 v[12:13], v[170:171], s[18:19], v[207:208]
	v_add_f64_e32 v[12:13], v[12:13], v[16:17]
	v_fma_f64 v[16:17], v[158:159], s[12:13], -v[148:149]
	v_fma_f64 v[148:149], v[158:159], s[12:13], v[148:149]
	s_delay_alu instid0(VALU_DEP_2) | instskip(SKIP_1) | instid1(VALU_DEP_3)
	v_add_f64_e32 v[16:17], v[16:17], v[24:25]
	v_mul_f64_e32 v[24:25], s[28:29], v[160:161]
	v_add_f64_e32 v[26:27], v[148:149], v[26:27]
	s_delay_alu instid0(VALU_DEP_2) | instskip(SKIP_1) | instid1(VALU_DEP_2)
	v_fma_f64 v[18:19], v[144:145], s[12:13], v[24:25]
	v_fma_f64 v[24:25], v[144:145], s[12:13], -v[24:25]
	v_add_f64_e32 v[18:19], v[18:19], v[34:35]
	v_mul_f64_e32 v[34:35], s[16:17], v[162:163]
	s_delay_alu instid0(VALU_DEP_3) | instskip(NEXT) | instid1(VALU_DEP_2)
	v_add_f64_e32 v[24:25], v[24:25], v[28:29]
	v_fma_f64 v[150:151], v[174:175], s[8:9], -v[34:35]
	v_fma_f64 v[28:29], v[174:175], s[8:9], v[34:35]
	s_delay_alu instid0(VALU_DEP_2) | instskip(SKIP_1) | instid1(VALU_DEP_3)
	v_add_f64_e32 v[16:17], v[150:151], v[16:17]
	v_mul_f64_e32 v[150:151], s[16:17], v[180:181]
	v_add_f64_e32 v[26:27], v[28:29], v[26:27]
	s_delay_alu instid0(VALU_DEP_2) | instskip(SKIP_1) | instid1(VALU_DEP_2)
	v_fma_f64 v[160:161], v[154:155], s[8:9], v[150:151]
	v_fma_f64 v[28:29], v[154:155], s[8:9], -v[150:151]
	v_add_f64_e32 v[18:19], v[160:161], v[18:19]
	v_mul_f64_e32 v[160:161], s[24:25], v[176:177]
	s_delay_alu instid0(VALU_DEP_3) | instskip(NEXT) | instid1(VALU_DEP_2)
	v_add_f64_e32 v[24:25], v[28:29], v[24:25]
	v_fma_f64 v[180:181], v[193:194], s[22:23], -v[160:161]
	v_fma_f64 v[28:29], v[193:194], s[22:23], v[160:161]
	s_delay_alu instid0(VALU_DEP_2) | instskip(SKIP_4) | instid1(VALU_DEP_4)
	v_add_f64_e32 v[16:17], v[180:181], v[16:17]
	v_mul_f64_e32 v[180:181], s[24:25], v[195:196]
	v_mul_f64_e32 v[195:196], s[10:11], v[199:200]
	;; [unrolled: 1-line block ×3, first 2 shown]
	v_add_f64_e32 v[26:27], v[28:29], v[26:27]
	v_fma_f64 v[28:29], v[166:167], s[22:23], -v[180:181]
	s_delay_alu instid0(VALU_DEP_4) | instskip(SKIP_1) | instid1(VALU_DEP_3)
	v_fma_f64 v[34:35], v[170:171], s[0:1], -v[195:196]
	v_fma_f64 v[182:183], v[166:167], s[22:23], v[180:181]
	v_add_f64_e32 v[24:25], v[28:29], v[24:25]
	v_fma_f64 v[28:29], v[197:198], s[0:1], v[199:200]
	s_delay_alu instid0(VALU_DEP_3) | instskip(SKIP_1) | instid1(VALU_DEP_4)
	v_add_f64_e32 v[182:183], v[182:183], v[18:19]
	v_fma_f64 v[18:19], v[197:198], s[0:1], -v[199:200]
	v_add_f64_e32 v[148:149], v[34:35], v[24:25]
	s_delay_alu instid0(VALU_DEP_4)
	v_add_f64_e32 v[150:151], v[28:29], v[26:27]
	v_fma_f64 v[28:29], v[174:175], s[0:1], v[30:31]
	v_fma_f64 v[24:25], v[193:194], s[8:9], v[201:202]
	v_fma_f64 v[26:27], v[197:198], s[18:19], v[205:206]
	v_mul_f64_e32 v[30:31], s[18:19], v[166:167]
	v_add_f64_e32 v[18:19], v[18:19], v[16:17]
	v_fma_f64 v[16:17], v[170:171], s[0:1], v[195:196]
	v_add_f64_e32 v[20:21], v[28:29], v[20:21]
	v_fma_f64 v[28:29], v[154:155], s[0:1], -v[32:33]
	v_mul_f64_e32 v[32:33], s[24:25], v[189:190]
	v_add_f64_e32 v[30:31], v[30:31], v[168:169]
	v_add_f64_e32 v[16:17], v[16:17], v[182:183]
	;; [unrolled: 1-line block ×4, first 2 shown]
	v_fma_f64 v[24:25], v[166:167], s[8:9], -v[203:204]
	v_mul_f64_e32 v[28:29], s[20:21], v[176:177]
	v_add_f64_e64 v[32:33], v[191:192], -v[32:33]
	v_add_f64_e32 v[160:161], v[26:27], v[20:21]
	v_add_f64_e64 v[20:21], v[152:153], -v[221:222]
	v_add_f64_e32 v[22:23], v[24:25], v[22:23]
	v_fma_f64 v[24:25], v[170:171], s[18:19], -v[207:208]
	v_add_f64_e64 v[28:29], v[178:179], -v[28:29]
	v_mul_f64_e32 v[26:27], s[12:13], v[154:155]
	v_add_f64_e32 v[20:21], v[20:21], v[217:218]
	s_delay_alu instid0(VALU_DEP_4) | instskip(SKIP_3) | instid1(VALU_DEP_3)
	v_add_f64_e32 v[158:159], v[24:25], v[22:23]
	v_mul_f64_e32 v[24:25], s[14:15], v[162:163]
	v_mul_f64_e32 v[22:23], s[0:1], v[144:145]
	v_add_f64_e32 v[26:27], v[26:27], v[156:157]
	v_add_f64_e64 v[24:25], v[164:165], -v[24:25]
	s_delay_alu instid0(VALU_DEP_3) | instskip(NEXT) | instid1(VALU_DEP_2)
	v_add_f64_e32 v[22:23], v[22:23], v[146:147]
	v_add_f64_e32 v[20:21], v[24:25], v[20:21]
	s_delay_alu instid0(VALU_DEP_2) | instskip(SKIP_1) | instid1(VALU_DEP_3)
	v_add_f64_e32 v[22:23], v[22:23], v[219:220]
	v_mul_f64_e32 v[24:25], s[22:23], v[170:171]
	v_add_f64_e32 v[20:21], v[28:29], v[20:21]
	s_delay_alu instid0(VALU_DEP_3) | instskip(NEXT) | instid1(VALU_DEP_3)
	v_add_f64_e32 v[22:23], v[26:27], v[22:23]
	v_add_f64_e32 v[24:25], v[24:25], v[172:173]
	s_delay_alu instid0(VALU_DEP_3) | instskip(SKIP_1) | instid1(VALU_DEP_4)
	v_add_f64_e32 v[146:147], v[32:33], v[20:21]
	v_add_f64_e32 v[20:21], v[185:186], v[76:77]
	;; [unrolled: 1-line block ×3, first 2 shown]
	s_delay_alu instid0(VALU_DEP_2) | instskip(NEXT) | instid1(VALU_DEP_2)
	v_add_f64_e32 v[20:21], v[20:21], v[68:69]
	v_add_f64_e32 v[144:145], v[24:25], v[22:23]
	;; [unrolled: 1-line block ×3, first 2 shown]
	s_delay_alu instid0(VALU_DEP_3) | instskip(NEXT) | instid1(VALU_DEP_2)
	v_add_f64_e32 v[20:21], v[20:21], v[58:59]
	v_add_f64_e32 v[22:23], v[22:23], v[62:63]
	s_delay_alu instid0(VALU_DEP_2) | instskip(NEXT) | instid1(VALU_DEP_2)
	v_add_f64_e32 v[20:21], v[20:21], v[46:47]
	v_add_f64_e32 v[22:23], v[22:23], v[50:51]
	s_delay_alu instid0(VALU_DEP_2) | instskip(NEXT) | instid1(VALU_DEP_2)
	;; [unrolled: 3-line block ×5, first 2 shown]
	v_add_f64_e32 v[20:21], v[20:21], v[64:65]
	v_add_f64_e32 v[22:23], v[22:23], v[56:57]
	s_delay_alu instid0(VALU_DEP_2) | instskip(SKIP_4) | instid1(VALU_DEP_1)
	v_add_f64_e32 v[46:47], v[20:21], v[52:53]
	s_clause 0x1
	scratch_load_b32 v20, off, off offset:156 th:TH_LOAD_LU
	scratch_load_b32 v21, off, off offset:152 th:TH_LOAD_LU
	v_add_f64_e32 v[22:23], v[22:23], v[66:67]
	v_add_f64_e32 v[44:45], v[22:23], v[54:55]
	s_wait_loadcnt 0x1
	v_mul_u32_u24_e32 v20, 33, v20
	s_wait_loadcnt 0x0
	s_delay_alu instid0(VALU_DEP_1)
	v_add_lshl_u32 v20, v20, v21, 4
	ds_store_b128 v20, v[0:3] offset:96
	ds_store_b128 v20, v[12:15] offset:144
	;; [unrolled: 1-line block ×9, first 2 shown]
	ds_store_b128 v20, v[44:47]
	ds_store_b128 v20, v[36:39] offset:480
.LBB0_13:
	s_or_b32 exec_lo, exec_lo, s33
	global_wb scope:SCOPE_SE
	s_wait_dscnt 0x0
	s_barrier_signal -1
	s_barrier_wait -1
	global_inv scope:SCOPE_SE
	ds_load_b128 v[0:3], v184 offset:5808
	ds_load_b128 v[4:7], v184 offset:11616
	;; [unrolled: 1-line block ×7, first 2 shown]
	s_mov_b32 s0, 0xe8584caa
	s_mov_b32 s1, 0xbfebb67a
	s_mov_b32 s9, 0x3febb67a
	s_wait_alu 0xfffe
	s_mov_b32 s8, s0
	s_wait_dscnt 0x6
	v_mul_f64_e32 v[20:21], v[86:87], v[2:3]
	s_wait_dscnt 0x5
	v_mul_f64_e32 v[22:23], v[82:83], v[6:7]
	v_mul_f64_e32 v[24:25], v[86:87], v[0:1]
	;; [unrolled: 1-line block ×3, first 2 shown]
	s_wait_dscnt 0x4
	v_mul_f64_e32 v[28:29], v[94:95], v[10:11]
	v_mul_f64_e32 v[32:33], v[94:95], v[8:9]
	s_wait_dscnt 0x2
	v_mul_f64_e32 v[52:53], v[102:103], v[18:19]
	s_wait_dscnt 0x1
	v_mul_f64_e32 v[54:55], v[98:99], v[46:47]
	v_mul_f64_e32 v[56:57], v[102:103], v[16:17]
	;; [unrolled: 1-line block ×5, first 2 shown]
	v_fma_f64 v[20:21], v[84:85], v[0:1], v[20:21]
	v_fma_f64 v[22:23], v[80:81], v[4:5], v[22:23]
	v_fma_f64 v[24:25], v[84:85], v[2:3], -v[24:25]
	v_fma_f64 v[26:27], v[80:81], v[6:7], -v[26:27]
	v_fma_f64 v[8:9], v[92:93], v[8:9], v[28:29]
	v_fma_f64 v[10:11], v[92:93], v[10:11], -v[32:33]
	v_fma_f64 v[16:17], v[100:101], v[16:17], v[52:53]
	v_fma_f64 v[28:29], v[96:97], v[44:45], v[54:55]
	ds_load_b128 v[0:3], v184
	ds_load_b128 v[4:7], v184 offset:1936
	v_fma_f64 v[18:19], v[100:101], v[18:19], -v[56:57]
	global_wb scope:SCOPE_SE
	s_wait_dscnt 0x0
	s_barrier_signal -1
	s_barrier_wait -1
	global_inv scope:SCOPE_SE
	v_fma_f64 v[12:13], v[88:89], v[12:13], v[30:31]
	v_fma_f64 v[14:15], v[88:89], v[14:15], -v[34:35]
	v_fma_f64 v[30:31], v[96:97], v[46:47], -v[58:59]
	v_add_f64_e32 v[56:57], v[0:1], v[20:21]
	v_add_f64_e32 v[32:33], v[20:21], v[22:23]
	v_add_f64_e64 v[20:21], v[20:21], -v[22:23]
	v_add_f64_e64 v[60:61], v[24:25], -v[26:27]
	v_add_f64_e32 v[34:35], v[24:25], v[26:27]
	v_add_f64_e32 v[24:25], v[2:3], v[24:25]
	;; [unrolled: 1-line block ×7, first 2 shown]
	v_add_f64_e64 v[16:17], v[16:17], -v[28:29]
	v_add_f64_e32 v[44:45], v[8:9], v[12:13]
	v_add_f64_e32 v[46:47], v[10:11], v[14:15]
	;; [unrolled: 1-line block ×3, first 2 shown]
	v_add_f64_e64 v[10:11], v[10:11], -v[14:15]
	v_add_f64_e64 v[8:9], v[8:9], -v[12:13]
	v_add_f64_e64 v[18:19], v[18:19], -v[30:31]
	v_fma_f64 v[0:1], v[32:33], -0.5, v[0:1]
	v_fma_f64 v[2:3], v[34:35], -0.5, v[2:3]
	v_add_f64_e32 v[68:69], v[64:65], v[28:29]
	v_fma_f64 v[32:33], v[52:53], -0.5, v[48:49]
	v_add_f64_e32 v[70:71], v[66:67], v[30:31]
	v_fma_f64 v[4:5], v[44:45], -0.5, v[4:5]
	v_fma_f64 v[6:7], v[46:47], -0.5, v[6:7]
	v_add_f64_e32 v[44:45], v[56:57], v[22:23]
	v_add_f64_e32 v[46:47], v[24:25], v[26:27]
	v_fma_f64 v[34:35], v[54:55], -0.5, v[50:51]
	v_add_f64_e32 v[56:57], v[58:59], v[12:13]
	v_add_f64_e32 v[58:59], v[62:63], v[14:15]
	v_fma_f64 v[52:53], v[60:61], s[0:1], v[0:1]
	s_wait_alu 0xfffe
	v_fma_f64 v[48:49], v[60:61], s[8:9], v[0:1]
	scratch_load_b32 v0, off, off offset:180 th:TH_LOAD_LU ; 4-byte Folded Reload
	v_fma_f64 v[54:55], v[20:21], s[8:9], v[2:3]
	v_fma_f64 v[50:51], v[20:21], s[0:1], v[2:3]
	s_wait_loadcnt 0x0
	ds_store_b128 v0, v[44:47]
	ds_store_b128 v0, v[52:55] offset:528
	ds_store_b128 v0, v[48:51] offset:1056
	scratch_load_b32 v0, off, off offset:176 th:TH_LOAD_LU ; 4-byte Folded Reload
	v_fma_f64 v[60:61], v[10:11], s[0:1], v[4:5]
	v_fma_f64 v[62:63], v[8:9], s[8:9], v[6:7]
	;; [unrolled: 1-line block ×8, first 2 shown]
	s_wait_loadcnt 0x0
	ds_store_b128 v0, v[56:59]
	ds_store_b128 v0, v[60:63] offset:528
	ds_store_b128 v0, v[64:67] offset:1056
	scratch_load_b32 v0, off, off offset:172 th:TH_LOAD_LU ; 4-byte Folded Reload
	s_wait_loadcnt 0x0
	ds_store_b128 v0, v[68:71]
	ds_store_b128 v0, v[76:79] offset:528
	ds_store_b128 v0, v[80:83] offset:1056
	global_wb scope:SCOPE_SE
	s_wait_dscnt 0x0
	s_barrier_signal -1
	s_barrier_wait -1
	global_inv scope:SCOPE_SE
	s_and_saveexec_b32 s0, vcc_lo
	s_cbranch_execz .LBB0_15
; %bb.14:
	ds_load_b128 v[44:47], v184
	ds_load_b128 v[52:55], v184 offset:1584
	ds_load_b128 v[48:51], v184 offset:3168
	;; [unrolled: 1-line block ×10, first 2 shown]
.LBB0_15:
	s_wait_alu 0xfffe
	s_or_b32 exec_lo, exec_lo, s0
	s_and_saveexec_b32 s16, vcc_lo
	s_cbranch_execz .LBB0_17
; %bb.16:
	s_wait_dscnt 0x9
	v_mul_f64_e32 v[0:1], v[74:75], v[52:53]
	v_mul_f64_e32 v[2:3], v[74:75], v[54:55]
	s_wait_dscnt 0x3
	v_mul_f64_e32 v[18:19], v[130:131], v[76:77]
	s_wait_dscnt 0x2
	v_mul_f64_e32 v[22:23], v[122:123], v[82:83]
	v_mul_f64_e32 v[24:25], v[106:107], v[50:51]
	s_wait_dscnt 0x1
	v_mul_f64_e32 v[26:27], v[114:115], v[42:43]
	;; [unrolled: 3-line block ×3, first 2 shown]
	v_mul_f64_e32 v[84:85], v[110:111], v[36:37]
	v_mul_f64_e32 v[4:5], v[134:135], v[66:67]
	;; [unrolled: 1-line block ×12, first 2 shown]
	s_mov_b32 s22, 0xbb3a28a1
	s_mov_b32 s26, 0xfd768dbf
	;; [unrolled: 1-line block ×11, first 2 shown]
	s_wait_alu 0xfffe
	s_mov_b32 s28, s24
	s_mov_b32 s10, 0x7f775887
	;; [unrolled: 1-line block ×7, first 2 shown]
	v_fma_f64 v[54:55], v[72:73], v[54:55], -v[0:1]
	v_fma_f64 v[72:73], v[72:73], v[52:53], v[2:3]
	v_fma_f64 v[2:3], v[128:129], v[78:79], -v[18:19]
	v_fma_f64 v[52:53], v[120:121], v[80:81], v[22:23]
	v_fma_f64 v[18:19], v[104:105], v[48:49], v[24:25]
	;; [unrolled: 1-line block ×3, first 2 shown]
	v_fma_f64 v[22:23], v[104:105], v[50:51], -v[34:35]
	v_fma_f64 v[36:37], v[108:109], v[36:37], v[28:29]
	v_fma_f64 v[38:39], v[108:109], v[38:39], -v[84:85]
	v_fma_f64 v[4:5], v[132:133], v[64:65], v[4:5]
	v_fma_f64 v[6:7], v[136:137], v[68:69], v[6:7]
	v_fma_f64 v[8:9], v[132:133], v[66:67], -v[8:9]
	v_fma_f64 v[10:11], v[136:137], v[70:71], -v[10:11]
	v_fma_f64 v[12:13], v[124:125], v[60:61], v[12:13]
	v_fma_f64 v[0:1], v[128:129], v[76:77], v[14:15]
	v_fma_f64 v[14:15], v[124:125], v[62:63], -v[16:17]
	v_fma_f64 v[16:17], v[116:117], v[56:57], v[20:21]
	v_fma_f64 v[20:21], v[116:117], v[58:59], -v[30:31]
	v_fma_f64 v[48:49], v[120:121], v[82:83], -v[32:33]
	;; [unrolled: 1-line block ×3, first 2 shown]
	s_mov_b32 s30, s18
	s_mov_b32 s34, s26
	;; [unrolled: 1-line block ×8, first 2 shown]
	v_add_f64_e32 v[24:25], v[46:47], v[54:55]
	v_add_f64_e32 v[26:27], v[44:45], v[72:73]
	v_add_f64_e64 v[34:35], v[18:19], -v[40:41]
	v_add_f64_e64 v[50:51], v[72:73], -v[36:37]
	;; [unrolled: 1-line block ×3, first 2 shown]
	v_add_f64_e32 v[54:55], v[54:55], v[38:39]
	v_add_f64_e64 v[28:29], v[4:5], -v[6:7]
	v_add_f64_e32 v[72:73], v[72:73], v[36:37]
	v_add_f64_e64 v[56:57], v[8:9], -v[10:11]
	;; [unrolled: 2-line block ×3, first 2 shown]
	v_add_f64_e64 v[58:59], v[14:15], -v[2:3]
	v_add_f64_e64 v[32:33], v[16:17], -v[52:53]
	v_add_f64_e32 v[78:79], v[16:17], v[52:53]
	v_add_f64_e64 v[60:61], v[20:21], -v[48:49]
	v_add_f64_e32 v[70:71], v[20:21], v[48:49]
	;; [unrolled: 2-line block ×3, first 2 shown]
	v_add_f64_e32 v[76:77], v[12:13], v[0:1]
	v_add_f64_e32 v[74:75], v[4:5], v[6:7]
	v_add_f64_e32 v[24:25], v[24:25], v[22:23]
	v_add_f64_e32 v[26:27], v[26:27], v[18:19]
	v_add_f64_e32 v[22:23], v[22:23], v[42:43]
	v_add_f64_e32 v[18:19], v[18:19], v[40:41]
	v_mul_f64_e32 v[86:87], s[24:25], v[34:35]
	s_wait_alu 0xfffe
	v_mul_f64_e32 v[122:123], s[34:35], v[34:35]
	v_mul_f64_e32 v[88:89], s[26:27], v[50:51]
	;; [unrolled: 1-line block ×13, first 2 shown]
	s_mov_b32 s21, 0xbfed1bb4
	v_mul_f64_e32 v[96:97], s[24:25], v[62:63]
	s_wait_alu 0xfffe
	v_mul_f64_e32 v[154:155], s[20:21], v[64:65]
	v_mul_f64_e32 v[64:65], s[28:29], v[64:65]
	;; [unrolled: 1-line block ×17, first 2 shown]
	v_add_f64_e32 v[20:21], v[24:25], v[20:21]
	v_add_f64_e32 v[16:17], v[26:27], v[16:17]
	v_mul_f64_e32 v[26:27], s[22:23], v[50:51]
	v_mul_f64_e32 v[50:51], s[20:21], v[50:51]
	;; [unrolled: 1-line block ×3, first 2 shown]
	v_fma_f64 v[158:159], v[22:23], s[12:13], v[86:87]
	v_fma_f64 v[86:87], v[22:23], s[12:13], -v[86:87]
	v_fma_f64 v[160:161], v[54:55], s[8:9], v[88:89]
	v_fma_f64 v[170:171], v[72:73], s[8:9], -v[98:99]
	v_fma_f64 v[174:175], v[72:73], s[10:11], -v[114:115]
	v_fma_f64 v[114:115], v[72:73], s[10:11], v[114:115]
	v_fma_f64 v[88:89], v[54:55], s[8:9], -v[88:89]
	v_fma_f64 v[98:99], v[72:73], s[8:9], v[98:99]
	v_fma_f64 v[176:177], v[54:55], s[14:15], v[124:125]
	v_fma_f64 v[178:179], v[72:73], s[14:15], -v[134:135]
	v_fma_f64 v[124:125], v[54:55], s[14:15], -v[124:125]
	v_fma_f64 v[134:135], v[72:73], s[14:15], v[134:135]
	v_fma_f64 v[180:181], v[54:55], s[12:13], v[152:153]
	v_fma_f64 v[152:153], v[54:55], s[12:13], -v[152:153]
	v_mul_f64_e32 v[138:139], s[30:31], v[30:31]
	v_fma_f64 v[168:169], v[18:19], s[12:13], -v[96:97]
	v_fma_f64 v[185:186], v[72:73], s[0:1], v[154:155]
	v_fma_f64 v[96:97], v[18:19], s[12:13], v[96:97]
	v_mul_f64_e32 v[146:147], s[30:31], v[58:59]
	v_fma_f64 v[187:188], v[18:19], s[8:9], -v[132:133]
	v_fma_f64 v[132:133], v[18:19], s[8:9], v[132:133]
	v_fma_f64 v[189:190], v[22:23], s[10:11], v[142:143]
	v_fma_f64 v[191:192], v[18:19], s[10:11], -v[150:151]
	v_fma_f64 v[142:143], v[22:23], s[10:11], -v[142:143]
	v_fma_f64 v[150:151], v[18:19], s[10:11], v[150:151]
	v_mul_f64_e32 v[30:31], s[22:23], v[30:31]
	v_fma_f64 v[156:157], v[70:71], s[10:11], v[84:85]
	v_fma_f64 v[166:167], v[78:79], s[10:11], -v[94:95]
	v_fma_f64 v[84:85], v[70:71], s[10:11], -v[84:85]
	v_fma_f64 v[94:95], v[78:79], s[10:11], v[94:95]
	v_fma_f64 v[197:198], v[70:71], s[14:15], v[32:33]
	v_fma_f64 v[199:200], v[78:79], s[14:15], -v[60:61]
	v_fma_f64 v[32:33], v[70:71], s[14:15], -v[32:33]
	v_add_f64_e32 v[14:15], v[20:21], v[14:15]
	v_add_f64_e32 v[12:13], v[16:17], v[12:13]
	v_mul_f64_e32 v[16:17], s[20:21], v[34:35]
	v_mul_f64_e32 v[20:21], s[20:21], v[62:63]
	v_fma_f64 v[172:173], v[54:55], s[10:11], v[26:27]
	v_fma_f64 v[26:27], v[54:55], s[10:11], -v[26:27]
	v_fma_f64 v[182:183], v[54:55], s[0:1], -v[50:51]
	v_fma_f64 v[50:51], v[54:55], s[0:1], v[50:51]
	v_fma_f64 v[54:55], v[72:73], s[0:1], -v[154:155]
	v_fma_f64 v[154:155], v[22:23], s[8:9], v[122:123]
	v_fma_f64 v[122:123], v[22:23], s[8:9], -v[122:123]
	v_add_f64_e32 v[114:115], v[44:45], v[114:115]
	v_add_f64_e32 v[88:89], v[46:47], v[88:89]
	;; [unrolled: 1-line block ×3, first 2 shown]
	v_fma_f64 v[60:61], v[78:79], s[14:15], v[60:61]
	v_add_f64_e32 v[124:125], v[46:47], v[124:125]
	v_add_f64_e32 v[134:135], v[44:45], v[134:135]
	v_mul_f64_e32 v[128:129], s[28:29], v[58:59]
	v_add_f64_e32 v[152:153], v[46:47], v[152:153]
	v_mul_f64_e32 v[58:59], s[22:23], v[58:59]
	v_mul_f64_e32 v[80:81], s[18:19], v[28:29]
	;; [unrolled: 1-line block ×9, first 2 shown]
	v_fma_f64 v[62:63], v[68:69], s[0:1], v[82:83]
	v_fma_f64 v[164:165], v[76:77], s[0:1], -v[92:93]
	v_fma_f64 v[82:83], v[68:69], s[0:1], -v[82:83]
	v_fma_f64 v[92:93], v[76:77], s[0:1], v[92:93]
	v_add_f64_e32 v[8:9], v[14:15], v[8:9]
	v_add_f64_e32 v[4:5], v[12:13], v[4:5]
	v_fma_f64 v[12:13], v[72:73], s[12:13], v[64:65]
	v_fma_f64 v[14:15], v[72:73], s[12:13], -v[64:65]
	v_fma_f64 v[64:65], v[22:23], s[14:15], v[24:25]
	v_fma_f64 v[72:73], v[18:19], s[14:15], -v[112:113]
	v_fma_f64 v[24:25], v[22:23], s[14:15], -v[24:25]
	v_fma_f64 v[112:113], v[18:19], s[14:15], v[112:113]
	v_fma_f64 v[193:194], v[22:23], s[0:1], v[16:17]
	v_fma_f64 v[195:196], v[18:19], s[0:1], -v[20:21]
	v_fma_f64 v[16:17], v[22:23], s[0:1], -v[16:17]
	v_fma_f64 v[18:19], v[18:19], s[0:1], v[20:21]
	v_add_f64_e32 v[20:21], v[46:47], v[160:161]
	v_add_f64_e32 v[22:23], v[44:45], v[170:171]
	;; [unrolled: 1-line block ×12, first 2 shown]
	v_fma_f64 v[54:55], v[78:79], s[12:13], v[110:111]
	v_fma_f64 v[182:183], v[70:71], s[8:9], v[140:141]
	v_fma_f64 v[185:186], v[78:79], s[8:9], -v[148:149]
	v_fma_f64 v[140:141], v[70:71], s[8:9], -v[140:141]
	v_fma_f64 v[148:149], v[78:79], s[8:9], v[148:149]
	v_fma_f64 v[34:35], v[66:67], s[14:15], v[80:81]
	v_fma_f64 v[162:163], v[74:75], s[14:15], -v[90:91]
	v_fma_f64 v[80:81], v[66:67], s[14:15], -v[80:81]
	v_fma_f64 v[90:91], v[74:75], s[14:15], v[90:91]
	v_add_f64_e32 v[8:9], v[8:9], v[10:11]
	v_add_f64_e32 v[4:5], v[4:5], v[6:7]
	;; [unrolled: 1-line block ×4, first 2 shown]
	v_fma_f64 v[12:13], v[70:71], s[12:13], v[104:105]
	v_fma_f64 v[14:15], v[78:79], s[12:13], -v[110:111]
	v_fma_f64 v[44:45], v[70:71], s[12:13], -v[104:105]
	v_fma_f64 v[104:105], v[70:71], s[0:1], v[120:121]
	v_fma_f64 v[110:111], v[78:79], s[0:1], -v[130:131]
	v_fma_f64 v[120:121], v[70:71], s[0:1], -v[120:121]
	v_fma_f64 v[130:131], v[78:79], s[0:1], v[130:131]
	v_add_f64_e32 v[70:71], v[86:87], v[88:89]
	v_add_f64_e32 v[20:21], v[158:159], v[20:21]
	;; [unrolled: 1-line block ×18, first 2 shown]
	v_fma_f64 v[132:133], v[68:69], s[14:15], v[138:139]
	v_fma_f64 v[134:135], v[76:77], s[14:15], -v[146:147]
	v_fma_f64 v[138:139], v[68:69], s[14:15], -v[138:139]
	v_fma_f64 v[142:143], v[76:77], s[14:15], v[146:147]
	v_fma_f64 v[146:147], v[68:69], s[10:11], v[30:31]
	v_fma_f64 v[30:31], v[68:69], s[10:11], -v[30:31]
	v_fma_f64 v[124:125], v[76:77], s[12:13], -v[128:129]
	v_fma_f64 v[128:129], v[76:77], s[12:13], v[128:129]
	v_fma_f64 v[150:151], v[76:77], s[10:11], -v[58:59]
	v_add_f64_e32 v[2:3], v[8:9], v[2:3]
	v_add_f64_e32 v[0:1], v[4:5], v[0:1]
	;; [unrolled: 1-line block ×4, first 2 shown]
	v_fma_f64 v[8:9], v[68:69], s[8:9], v[102:103]
	v_fma_f64 v[10:11], v[76:77], s[8:9], -v[108:109]
	v_fma_f64 v[18:19], v[68:69], s[8:9], -v[102:103]
	v_fma_f64 v[102:103], v[76:77], s[8:9], v[108:109]
	v_fma_f64 v[108:109], v[68:69], s[12:13], v[118:119]
	v_fma_f64 v[118:119], v[68:69], s[12:13], -v[118:119]
	v_fma_f64 v[58:59], v[76:77], s[10:11], v[58:59]
	v_add_f64_e32 v[68:69], v[84:85], v[70:71]
	v_add_f64_e32 v[20:21], v[156:157], v[20:21]
	;; [unrolled: 1-line block ×18, first 2 shown]
	v_fma_f64 v[84:85], v[74:75], s[0:1], v[106:107]
	v_fma_f64 v[86:87], v[66:67], s[10:11], v[116:117]
	v_fma_f64 v[94:95], v[66:67], s[10:11], -v[116:117]
	v_fma_f64 v[98:99], v[66:67], s[12:13], v[136:137]
	v_fma_f64 v[104:105], v[66:67], s[12:13], -v[136:137]
	;; [unrolled: 2-line block ×3, first 2 shown]
	v_fma_f64 v[28:29], v[66:67], s[8:9], -v[28:29]
	v_fma_f64 v[96:97], v[74:75], s[10:11], v[126:127]
	v_add_f64_e32 v[2:3], v[2:3], v[48:49]
	v_add_f64_e32 v[0:1], v[0:1], v[52:53]
	;; [unrolled: 1-line block ×4, first 2 shown]
	v_fma_f64 v[48:49], v[66:67], s[0:1], v[100:101]
	v_fma_f64 v[52:53], v[74:75], s[0:1], -v[106:107]
	v_fma_f64 v[60:61], v[66:67], s[0:1], -v[100:101]
	v_fma_f64 v[66:67], v[74:75], s[8:9], v[56:57]
	v_fma_f64 v[106:107], v[74:75], s[12:13], v[144:145]
	v_fma_f64 v[88:89], v[74:75], s[10:11], -v[126:127]
	v_fma_f64 v[100:101], v[74:75], s[12:13], -v[144:145]
	v_add_f64_e32 v[56:57], v[82:83], v[68:69]
	v_add_f64_e32 v[20:21], v[62:63], v[20:21]
	;; [unrolled: 1-line block ×44, first 2 shown]
	ds_store_b128 v184, v[12:15] offset:6336
	ds_store_b128 v184, v[4:7] offset:7920
	;; [unrolled: 1-line block ×8, first 2 shown]
	ds_store_b128 v184, v[36:39]
	ds_store_b128 v184, v[48:51] offset:1584
	ds_store_b128 v184, v[44:47] offset:15840
.LBB0_17:
	s_wait_alu 0xfffe
	s_or_b32 exec_lo, exec_lo, s16
	global_wb scope:SCOPE_SE
	s_wait_dscnt 0x0
	s_barrier_signal -1
	s_barrier_wait -1
	global_inv scope:SCOPE_SE
	scratch_load_b64 v[4:5], off, off th:TH_LOAD_LU ; 8-byte Folded Reload
	ds_load_b128 v[0:3], v184
	v_mad_co_u64_u32 v[22:23], null, s4, v255, 0
	s_mul_u64 s[0:1], s[4:5], 0x16b0
	s_wait_loadcnt 0x0
	v_mov_b32_e32 v24, v4
	ds_load_b128 v[4:7], v184 offset:5808
	ds_load_b128 v[8:11], v184 offset:11616
	;; [unrolled: 1-line block ×8, first 2 shown]
	s_clause 0x1
	scratch_load_b128 v[88:91], off, off offset:40 th:TH_LOAD_LU
	scratch_load_b128 v[96:99], off, off offset:88 th:TH_LOAD_LU
	v_mad_co_u64_u32 v[20:21], null, s6, v24, 0
	s_clause 0x2
	scratch_load_b128 v[100:103], off, off offset:104 th:TH_LOAD_LU
	scratch_load_b128 v[84:87], off, off offset:24 th:TH_LOAD_LU
	;; [unrolled: 1-line block ×3, first 2 shown]
	v_mad_co_u64_u32 v[24:25], null, s7, v24, v[21:22]
	s_delay_alu instid0(VALU_DEP_1) | instskip(SKIP_1) | instid1(VALU_DEP_1)
	v_mad_co_u64_u32 v[29:30], null, s5, v255, v[23:24]
	v_mov_b32_e32 v21, v24
	v_lshlrev_b64_e32 v[20:21], 4, v[20:21]
	s_delay_alu instid0(VALU_DEP_3) | instskip(NEXT) | instid1(VALU_DEP_1)
	v_mov_b32_e32 v23, v29
	v_lshlrev_b64_e32 v[22:23], 4, v[22:23]
	s_delay_alu instid0(VALU_DEP_3) | instskip(SKIP_1) | instid1(VALU_DEP_4)
	v_add_co_u32 v20, vcc_lo, s2, v20
	s_wait_alu 0xfffd
	v_add_co_ci_u32_e32 v21, vcc_lo, s3, v21, vcc_lo
	s_mul_i32 s2, s5, 0xffffda30
	s_delay_alu instid0(VALU_DEP_2) | instskip(SKIP_1) | instid1(VALU_DEP_2)
	v_add_co_u32 v78, vcc_lo, v20, v22
	s_wait_alu 0xfffd
	v_add_co_ci_u32_e32 v79, vcc_lo, v21, v23, vcc_lo
	s_wait_alu 0xfffe
	s_sub_co_i32 s5, s2, s4
	s_mov_b32 s2, 0xa3611655
	s_mov_b32 s3, 0x3f4e1709
	s_wait_loadcnt_dscnt 0x408
	v_mul_f64_e32 v[25:26], v[90:91], v[2:3]
	v_mul_f64_e32 v[27:28], v[90:91], v[0:1]
	scratch_load_b128 v[90:93], off, off offset:56 th:TH_LOAD_LU ; 16-byte Folded Reload
	s_wait_loadcnt_dscnt 0x406
	v_mul_f64_e32 v[34:35], v[98:99], v[10:11]
	s_wait_loadcnt 0x3
	v_mul_f64_e32 v[30:31], v[102:103], v[6:7]
	v_mul_f64_e32 v[32:33], v[102:103], v[4:5]
	;; [unrolled: 1-line block ×3, first 2 shown]
	s_wait_loadcnt_dscnt 0x205
	v_mul_f64_e32 v[54:55], v[86:87], v[14:15]
	v_mul_f64_e32 v[56:57], v[86:87], v[12:13]
	s_wait_loadcnt_dscnt 0x104
	v_mul_f64_e32 v[58:59], v[82:83], v[18:19]
	v_mul_f64_e32 v[60:61], v[82:83], v[16:17]
	scratch_load_b128 v[102:105], off, off offset:120 th:TH_LOAD_LU ; 16-byte Folded Reload
	v_fma_f64 v[0:1], v[88:89], v[0:1], v[25:26]
	v_fma_f64 v[2:3], v[88:89], v[2:3], -v[27:28]
	v_fma_f64 v[8:9], v[96:97], v[8:9], v[34:35]
	v_fma_f64 v[4:5], v[100:101], v[4:5], v[30:31]
	v_fma_f64 v[6:7], v[100:101], v[6:7], -v[32:33]
	v_fma_f64 v[10:11], v[96:97], v[10:11], -v[52:53]
	v_fma_f64 v[12:13], v[84:85], v[12:13], v[54:55]
	v_fma_f64 v[14:15], v[84:85], v[14:15], -v[56:57]
	v_fma_f64 v[16:17], v[80:81], v[16:17], v[58:59]
	v_fma_f64 v[18:19], v[80:81], v[18:19], -v[60:61]
	s_wait_alu 0xfffe
	v_mul_f64_e32 v[0:1], s[2:3], v[0:1]
	v_mul_f64_e32 v[2:3], s[2:3], v[2:3]
	;; [unrolled: 1-line block ×10, first 2 shown]
	s_wait_loadcnt_dscnt 0x103
	v_mul_f64_e32 v[62:63], v[92:93], v[38:39]
	v_mul_f64_e32 v[64:65], v[92:93], v[36:37]
	scratch_load_b128 v[92:95], off, off offset:72 th:TH_LOAD_LU ; 16-byte Folded Reload
	s_wait_loadcnt_dscnt 0x101
	v_mul_f64_e32 v[70:71], v[104:105], v[46:47]
	v_mul_f64_e32 v[72:73], v[104:105], v[44:45]
	scratch_load_b128 v[104:107], off, off offset:136 th:TH_LOAD_LU ; 16-byte Folded Reload
	v_fma_f64 v[20:21], v[90:91], v[36:37], v[62:63]
	v_fma_f64 v[22:23], v[90:91], v[38:39], -v[64:65]
	v_add_co_u32 v36, vcc_lo, v78, s0
	s_wait_alu 0xfffd
	v_add_co_ci_u32_e32 v37, vcc_lo, s1, v79, vcc_lo
	s_delay_alu instid0(VALU_DEP_2) | instskip(SKIP_1) | instid1(VALU_DEP_2)
	v_add_co_u32 v38, vcc_lo, v36, s0
	s_wait_alu 0xfffd
	v_add_co_ci_u32_e32 v39, vcc_lo, s1, v37, vcc_lo
	v_fma_f64 v[28:29], v[102:103], v[44:45], v[70:71]
	v_fma_f64 v[30:31], v[102:103], v[46:47], -v[72:73]
	v_mul_f64_e32 v[20:21], s[2:3], v[20:21]
	v_mul_f64_e32 v[22:23], s[2:3], v[22:23]
	s_delay_alu instid0(VALU_DEP_4) | instskip(NEXT) | instid1(VALU_DEP_4)
	v_mul_f64_e32 v[28:29], s[2:3], v[28:29]
	v_mul_f64_e32 v[30:31], s[2:3], v[30:31]
	s_wait_loadcnt 0x1
	v_mul_f64_e32 v[66:67], v[94:95], v[42:43]
	v_mul_f64_e32 v[68:69], v[94:95], v[40:41]
	s_wait_loadcnt_dscnt 0x0
	v_mul_f64_e32 v[74:75], v[106:107], v[50:51]
	v_mul_f64_e32 v[76:77], v[106:107], v[48:49]
	s_delay_alu instid0(VALU_DEP_4) | instskip(NEXT) | instid1(VALU_DEP_4)
	v_fma_f64 v[24:25], v[92:93], v[40:41], v[66:67]
	v_fma_f64 v[26:27], v[92:93], v[42:43], -v[68:69]
	v_mad_co_u64_u32 v[40:41], null, 0xffffda30, s4, v[38:39]
	v_fma_f64 v[32:33], v[104:105], v[48:49], v[74:75]
	v_fma_f64 v[34:35], v[104:105], v[50:51], -v[76:77]
	s_delay_alu instid0(VALU_DEP_3) | instskip(NEXT) | instid1(VALU_DEP_4)
	v_add_nc_u32_e32 v41, s5, v41
	v_add_co_u32 v42, vcc_lo, v40, s0
	s_wait_alu 0xfffd
	s_delay_alu instid0(VALU_DEP_2) | instskip(NEXT) | instid1(VALU_DEP_2)
	v_add_co_ci_u32_e32 v43, vcc_lo, s1, v41, vcc_lo
	v_add_co_u32 v44, vcc_lo, v42, s0
	s_wait_alu 0xfffd
	s_delay_alu instid0(VALU_DEP_2) | instskip(NEXT) | instid1(VALU_DEP_1)
	v_add_co_ci_u32_e32 v45, vcc_lo, s1, v43, vcc_lo
	v_mad_co_u64_u32 v[46:47], null, 0xffffda30, s4, v[44:45]
	s_delay_alu instid0(VALU_DEP_1) | instskip(NEXT) | instid1(VALU_DEP_2)
	v_add_nc_u32_e32 v47, s5, v47
	v_add_co_u32 v48, vcc_lo, v46, s0
	v_mul_f64_e32 v[24:25], s[2:3], v[24:25]
	v_mul_f64_e32 v[26:27], s[2:3], v[26:27]
	s_wait_alu 0xfffd
	v_add_co_ci_u32_e32 v49, vcc_lo, s1, v47, vcc_lo
	v_add_co_u32 v50, vcc_lo, v48, s0
	s_wait_alu 0xfffd
	s_delay_alu instid0(VALU_DEP_2)
	v_add_co_ci_u32_e32 v51, vcc_lo, s1, v49, vcc_lo
	v_mul_f64_e32 v[32:33], s[2:3], v[32:33]
	v_mul_f64_e32 v[34:35], s[2:3], v[34:35]
	s_clause 0x4
	global_store_b128 v[78:79], v[0:3], off
	global_store_b128 v[36:37], v[4:7], off
	;; [unrolled: 1-line block ×9, first 2 shown]
.LBB0_18:
	s_nop 0
	s_sendmsg sendmsg(MSG_DEALLOC_VGPRS)
	s_endpgm
	.section	.rodata,"a",@progbits
	.p2align	6, 0x0
	.amdhsa_kernel bluestein_single_fwd_len1089_dim1_dp_op_CI_CI
		.amdhsa_group_segment_fixed_size 17424
		.amdhsa_private_segment_fixed_size 244
		.amdhsa_kernarg_size 104
		.amdhsa_user_sgpr_count 2
		.amdhsa_user_sgpr_dispatch_ptr 0
		.amdhsa_user_sgpr_queue_ptr 0
		.amdhsa_user_sgpr_kernarg_segment_ptr 1
		.amdhsa_user_sgpr_dispatch_id 0
		.amdhsa_user_sgpr_private_segment_size 0
		.amdhsa_wavefront_size32 1
		.amdhsa_uses_dynamic_stack 0
		.amdhsa_enable_private_segment 1
		.amdhsa_system_sgpr_workgroup_id_x 1
		.amdhsa_system_sgpr_workgroup_id_y 0
		.amdhsa_system_sgpr_workgroup_id_z 0
		.amdhsa_system_sgpr_workgroup_info 0
		.amdhsa_system_vgpr_workitem_id 0
		.amdhsa_next_free_vgpr 256
		.amdhsa_next_free_sgpr 42
		.amdhsa_reserve_vcc 1
		.amdhsa_float_round_mode_32 0
		.amdhsa_float_round_mode_16_64 0
		.amdhsa_float_denorm_mode_32 3
		.amdhsa_float_denorm_mode_16_64 3
		.amdhsa_fp16_overflow 0
		.amdhsa_workgroup_processor_mode 1
		.amdhsa_memory_ordered 1
		.amdhsa_forward_progress 0
		.amdhsa_round_robin_scheduling 0
		.amdhsa_exception_fp_ieee_invalid_op 0
		.amdhsa_exception_fp_denorm_src 0
		.amdhsa_exception_fp_ieee_div_zero 0
		.amdhsa_exception_fp_ieee_overflow 0
		.amdhsa_exception_fp_ieee_underflow 0
		.amdhsa_exception_fp_ieee_inexact 0
		.amdhsa_exception_int_div_zero 0
	.end_amdhsa_kernel
	.text
.Lfunc_end0:
	.size	bluestein_single_fwd_len1089_dim1_dp_op_CI_CI, .Lfunc_end0-bluestein_single_fwd_len1089_dim1_dp_op_CI_CI
                                        ; -- End function
	.section	.AMDGPU.csdata,"",@progbits
; Kernel info:
; codeLenInByte = 16492
; NumSgprs: 44
; NumVgprs: 256
; ScratchSize: 244
; MemoryBound: 0
; FloatMode: 240
; IeeeMode: 1
; LDSByteSize: 17424 bytes/workgroup (compile time only)
; SGPRBlocks: 5
; VGPRBlocks: 31
; NumSGPRsForWavesPerEU: 44
; NumVGPRsForWavesPerEU: 256
; Occupancy: 5
; WaveLimiterHint : 1
; COMPUTE_PGM_RSRC2:SCRATCH_EN: 1
; COMPUTE_PGM_RSRC2:USER_SGPR: 2
; COMPUTE_PGM_RSRC2:TRAP_HANDLER: 0
; COMPUTE_PGM_RSRC2:TGID_X_EN: 1
; COMPUTE_PGM_RSRC2:TGID_Y_EN: 0
; COMPUTE_PGM_RSRC2:TGID_Z_EN: 0
; COMPUTE_PGM_RSRC2:TIDIG_COMP_CNT: 0
	.text
	.p2alignl 7, 3214868480
	.fill 96, 4, 3214868480
	.type	__hip_cuid_8f2ddede84e61174,@object ; @__hip_cuid_8f2ddede84e61174
	.section	.bss,"aw",@nobits
	.globl	__hip_cuid_8f2ddede84e61174
__hip_cuid_8f2ddede84e61174:
	.byte	0                               ; 0x0
	.size	__hip_cuid_8f2ddede84e61174, 1

	.ident	"AMD clang version 19.0.0git (https://github.com/RadeonOpenCompute/llvm-project roc-6.4.0 25133 c7fe45cf4b819c5991fe208aaa96edf142730f1d)"
	.section	".note.GNU-stack","",@progbits
	.addrsig
	.addrsig_sym __hip_cuid_8f2ddede84e61174
	.amdgpu_metadata
---
amdhsa.kernels:
  - .args:
      - .actual_access:  read_only
        .address_space:  global
        .offset:         0
        .size:           8
        .value_kind:     global_buffer
      - .actual_access:  read_only
        .address_space:  global
        .offset:         8
        .size:           8
        .value_kind:     global_buffer
      - .actual_access:  read_only
        .address_space:  global
        .offset:         16
        .size:           8
        .value_kind:     global_buffer
      - .actual_access:  read_only
        .address_space:  global
        .offset:         24
        .size:           8
        .value_kind:     global_buffer
      - .actual_access:  read_only
        .address_space:  global
        .offset:         32
        .size:           8
        .value_kind:     global_buffer
      - .offset:         40
        .size:           8
        .value_kind:     by_value
      - .address_space:  global
        .offset:         48
        .size:           8
        .value_kind:     global_buffer
      - .address_space:  global
        .offset:         56
        .size:           8
        .value_kind:     global_buffer
      - .address_space:  global
        .offset:         64
        .size:           8
        .value_kind:     global_buffer
      - .address_space:  global
        .offset:         72
        .size:           8
        .value_kind:     global_buffer
      - .offset:         80
        .size:           4
        .value_kind:     by_value
      - .address_space:  global
        .offset:         88
        .size:           8
        .value_kind:     global_buffer
      - .address_space:  global
        .offset:         96
        .size:           8
        .value_kind:     global_buffer
    .group_segment_fixed_size: 17424
    .kernarg_segment_align: 8
    .kernarg_segment_size: 104
    .language:       OpenCL C
    .language_version:
      - 2
      - 0
    .max_flat_workgroup_size: 121
    .name:           bluestein_single_fwd_len1089_dim1_dp_op_CI_CI
    .private_segment_fixed_size: 244
    .sgpr_count:     44
    .sgpr_spill_count: 0
    .symbol:         bluestein_single_fwd_len1089_dim1_dp_op_CI_CI.kd
    .uniform_work_group_size: 1
    .uses_dynamic_stack: false
    .vgpr_count:     256
    .vgpr_spill_count: 60
    .wavefront_size: 32
    .workgroup_processor_mode: 1
amdhsa.target:   amdgcn-amd-amdhsa--gfx1201
amdhsa.version:
  - 1
  - 2
...

	.end_amdgpu_metadata
